;; amdgpu-corpus repo=ROCm/rocFFT kind=compiled arch=gfx950 opt=O3
	.text
	.amdgcn_target "amdgcn-amd-amdhsa--gfx950"
	.amdhsa_code_object_version 6
	.protected	bluestein_single_back_len1326_dim1_sp_op_CI_CI ; -- Begin function bluestein_single_back_len1326_dim1_sp_op_CI_CI
	.globl	bluestein_single_back_len1326_dim1_sp_op_CI_CI
	.p2align	8
	.type	bluestein_single_back_len1326_dim1_sp_op_CI_CI,@function
bluestein_single_back_len1326_dim1_sp_op_CI_CI: ; @bluestein_single_back_len1326_dim1_sp_op_CI_CI
; %bb.0:
	s_load_dwordx4 s[4:7], s[0:1], 0x28
	v_mul_u32_u24_e32 v1, 0x283, v0
	v_lshrrev_b32_e32 v1, 16, v1
	v_lshl_add_u32 v2, s2, 1, v1
	v_mov_b32_e32 v3, 0
	v_accvgpr_write_b32 a2, v2
	s_waitcnt lgkmcnt(0)
	v_cmp_gt_u64_e32 vcc, s[4:5], v[2:3]
	s_and_saveexec_b64 s[2:3], vcc
	s_cbranch_execz .LBB0_23
; %bb.1:
	v_mul_lo_u16_e32 v2, 0x66, v1
	s_load_dwordx2 s[12:13], s[0:1], 0x0
	s_load_dwordx2 s[14:15], s[0:1], 0x38
	v_sub_u16_e32 v2, v0, v2
	v_and_b32_e32 v0, 1, v1
	v_mov_b32_e32 v1, 0x52e
	v_cmp_eq_u32_e32 vcc, 1, v0
	v_lshlrev_b32_e32 v0, 3, v2
	s_movk_i32 s2, 0x4e
	v_cndmask_b32_e32 v236, 0, v1, vcc
	v_accvgpr_write_b32 a0, v0
	v_lshlrev_b32_e32 v0, 3, v236
	v_cmp_gt_u16_e64 s[4:5], s2, v2
	v_accvgpr_write_b32 a4, v2
	v_accvgpr_write_b32 a1, v0
	s_and_saveexec_b64 s[2:3], s[4:5]
	s_cbranch_execz .LBB0_3
; %bb.2:
	s_load_dwordx2 s[8:9], s[0:1], 0x18
	v_accvgpr_read_b32 v10, a2
	v_mov_b32_e32 v0, s6
	v_mov_b32_e32 v1, s7
	v_accvgpr_read_b32 v12, a4
	s_waitcnt lgkmcnt(0)
	s_load_dwordx4 s[8:11], s[8:9], 0x0
	v_mov_b32_e32 v68, 0x270
	v_accvgpr_read_b32 v72, a0
	v_accvgpr_read_b32 v71, a1
	v_lshl_add_u32 v70, v12, 3, v71
	s_waitcnt lgkmcnt(0)
	v_mad_u64_u32 v[2:3], s[6:7], s10, v10, 0
	v_mad_u64_u32 v[4:5], s[6:7], s8, v12, 0
	v_mov_b32_e32 v6, v3
	v_mov_b32_e32 v8, v5
	v_mad_u64_u32 v[6:7], s[6:7], s11, v10, v[6:7]
	v_mov_b32_e32 v3, v6
	v_mad_u64_u32 v[6:7], s[6:7], s9, v12, v[8:9]
	v_mov_b32_e32 v5, v6
	v_lshl_add_u64 v[0:1], v[2:3], 3, v[0:1]
	v_lshl_add_u64 v[2:3], v[4:5], 3, v[0:1]
	v_mad_u64_u32 v[8:9], s[6:7], s8, v68, v[2:3]
	s_mul_i32 s6, s9, 0x270
	s_nop 0
	v_add_u32_e32 v9, s6, v9
	v_mad_u64_u32 v[18:19], s[10:11], s8, v68, v[8:9]
	v_add_u32_e32 v19, s6, v19
	global_load_dwordx2 v[0:1], v[2:3], off
	global_load_dwordx2 v[4:5], v72, s[12:13]
	s_nop 0
	global_load_dwordx2 v[2:3], v72, s[12:13] offset:624
	global_load_dwordx2 v[6:7], v[8:9], off
	s_nop 0
	global_load_dwordx2 v[8:9], v72, s[12:13] offset:1248
	global_load_dwordx2 v[10:11], v72, s[12:13] offset:1872
	;; [unrolled: 1-line block ×5, first 2 shown]
	global_load_dwordx2 v[24:25], v[18:19], off
	v_mad_u64_u32 v[18:19], s[10:11], s8, v68, v[18:19]
	v_add_u32_e32 v19, s6, v19
	v_mad_u64_u32 v[26:27], s[10:11], s8, v68, v[18:19]
	v_add_u32_e32 v27, s6, v27
	global_load_dwordx2 v[18:19], v[18:19], off
	v_mov_b32_e32 v73, 0
	global_load_dwordx2 v[28:29], v[26:27], off
	v_mad_u64_u32 v[26:27], s[10:11], s8, v68, v[26:27]
	v_add_u32_e32 v27, s6, v27
	global_load_dwordx2 v[30:31], v[26:27], off
	v_mad_u64_u32 v[26:27], s[10:11], s8, v68, v[26:27]
	v_add_u32_e32 v27, s6, v27
	s_movk_i32 s7, 0x1000
	v_lshl_add_u64 v[20:21], s[12:13], 0, v[72:73]
	global_load_dwordx2 v[32:33], v[26:27], off
	v_mad_u64_u32 v[26:27], s[10:11], s8, v68, v[26:27]
	v_add_co_u32_e32 v22, vcc, s7, v20
	v_add_u32_e32 v27, s6, v27
	s_nop 0
	v_addc_co_u32_e32 v23, vcc, 0, v21, vcc
	global_load_dwordx2 v[34:35], v[26:27], off
	global_load_dwordx2 v[36:37], v[22:23], off offset:272
	v_mad_u64_u32 v[26:27], s[10:11], s8, v68, v[26:27]
	v_add_u32_e32 v27, s6, v27
	global_load_dwordx2 v[38:39], v[26:27], off
	global_load_dwordx2 v[40:41], v[22:23], off offset:896
	global_load_dwordx2 v[42:43], v[22:23], off offset:1520
	;; [unrolled: 1-line block ×3, first 2 shown]
	v_mad_u64_u32 v[26:27], s[10:11], s8, v68, v[26:27]
	v_add_u32_e32 v27, s6, v27
	global_load_dwordx2 v[46:47], v[26:27], off
	v_mad_u64_u32 v[26:27], s[10:11], s8, v68, v[26:27]
	v_add_u32_e32 v27, s6, v27
	global_load_dwordx2 v[48:49], v[26:27], off
	v_mad_u64_u32 v[26:27], s[10:11], s8, v68, v[26:27]
	v_add_u32_e32 v27, s6, v27
	global_load_dwordx2 v[50:51], v[26:27], off
	global_load_dwordx2 v[52:53], v[22:23], off offset:2768
	v_mad_u64_u32 v[26:27], s[10:11], s8, v68, v[26:27]
	v_add_u32_e32 v27, s6, v27
	global_load_dwordx2 v[54:55], v[26:27], off
	global_load_dwordx2 v[56:57], v[22:23], off offset:3392
	v_mad_u64_u32 v[26:27], s[10:11], s8, v68, v[26:27]
	s_movk_i32 s9, 0x2000
	v_add_u32_e32 v27, s6, v27
	v_add_co_u32_e32 v20, vcc, s9, v20
	global_load_dwordx2 v[58:59], v[26:27], off
	global_load_dwordx2 v[60:61], v[22:23], off offset:4016
	v_mad_u64_u32 v[22:23], s[10:11], s8, v68, v[26:27]
	v_addc_co_u32_e32 v21, vcc, 0, v21, vcc
	v_add_u32_e32 v23, s6, v23
	global_load_dwordx2 v[26:27], v[22:23], off
	global_load_dwordx2 v[62:63], v[20:21], off offset:544
	global_load_dwordx2 v[64:65], v[20:21], off offset:1792
	;; [unrolled: 1-line block ×3, first 2 shown]
	v_mad_u64_u32 v[20:21], s[10:11], s8, v68, v[22:23]
	v_add_u32_e32 v21, s6, v21
	global_load_dwordx2 v[22:23], v[20:21], off
	v_mad_u64_u32 v[20:21], s[8:9], s8, v68, v[20:21]
	v_add_u32_e32 v21, s6, v21
	global_load_dwordx2 v[20:21], v[20:21], off
	s_waitcnt vmcnt(32)
	v_mul_f32_e32 v68, v1, v5
	v_mul_f32_e32 v5, v0, v5
	v_fmac_f32_e32 v68, v0, v4
	v_fma_f32 v69, v1, v4, -v5
	s_waitcnt vmcnt(30)
	v_mul_f32_e32 v0, v7, v3
	v_mul_f32_e32 v1, v6, v3
	v_fmac_f32_e32 v0, v6, v2
	v_fma_f32 v1, v7, v2, -v1
	;; [unrolled: 5-line block ×3, first 2 shown]
	v_add_u32_e32 v4, v71, v72
	ds_write_b64 v70, v[68:69]
	ds_write2_b64 v4, v[0:1], v[2:3] offset0:78 offset1:156
	s_waitcnt vmcnt(23)
	v_mul_f32_e32 v0, v19, v11
	v_mul_f32_e32 v1, v18, v11
	s_waitcnt vmcnt(22)
	v_mul_f32_e32 v2, v29, v13
	v_mul_f32_e32 v3, v28, v13
	v_fmac_f32_e32 v0, v18, v10
	v_fma_f32 v1, v19, v10, -v1
	v_fmac_f32_e32 v2, v28, v12
	v_fma_f32 v3, v29, v12, -v3
	v_add_u32_e32 v5, 0x400, v4
	ds_write2_b64 v5, v[0:1], v[2:3] offset0:106 offset1:184
	s_waitcnt vmcnt(21)
	v_mul_f32_e32 v0, v31, v15
	v_mul_f32_e32 v1, v30, v15
	s_waitcnt vmcnt(20)
	v_mul_f32_e32 v2, v33, v17
	v_mul_f32_e32 v3, v32, v17
	v_fmac_f32_e32 v0, v30, v14
	v_fma_f32 v1, v31, v14, -v1
	v_fmac_f32_e32 v2, v32, v16
	v_fma_f32 v3, v33, v16, -v3
	v_add_u32_e32 v5, 0x800, v4
	;; [unrolled: 12-line block ×7, first 2 shown]
	ds_write2_b64 v4, v[0:1], v[2:3] offset0:146 offset1:224
.LBB0_3:
	s_or_b64 exec, exec, s[2:3]
	v_mov_b64_e32 v[0:1], 0
	s_waitcnt lgkmcnt(0)
	s_barrier
	s_waitcnt lgkmcnt(0)
                                        ; implicit-def: $vgpr6
                                        ; implicit-def: $vgpr12
                                        ; implicit-def: $vgpr10
                                        ; implicit-def: $vgpr36
                                        ; implicit-def: $vgpr26
                                        ; implicit-def: $vgpr38
                                        ; implicit-def: $vgpr32
                                        ; implicit-def: $vgpr58
	s_and_saveexec_b64 s[2:3], s[4:5]
	s_cbranch_execz .LBB0_5
; %bb.4:
	v_accvgpr_read_b32 v0, a0
	v_lshl_add_u32 v16, v236, 3, v0
	v_add_u32_e32 v4, 0x800, v16
	ds_read2_b64 v[0:3], v16 offset1:78
	ds_read2_b64 v[30:33], v16 offset0:156 offset1:234
	ds_read2_b64 v[26:29], v4 offset0:56 offset1:134
	v_add_u32_e32 v4, 0xc00, v16
	ds_read2_b64 v[8:11], v4 offset0:84 offset1:162
	v_add_u32_e32 v4, 0x1000, v16
	v_add_u32_e32 v17, 0x1800, v16
	ds_read2_b64 v[4:7], v4 offset0:112 offset1:190
	ds_read2_b64 v[12:15], v17 offset0:12 offset1:90
	;; [unrolled: 1-line block ×3, first 2 shown]
	v_add_u32_e32 v17, 0x2000, v16
	ds_read2_b64 v[38:41], v17 offset0:68 offset1:146
	ds_read_b64 v[58:59], v16 offset:9984
.LBB0_5:
	s_or_b64 exec, exec, s[2:3]
	s_waitcnt lgkmcnt(0)
	v_pk_add_f32 v[52:53], v[2:3], v[58:59] neg_lo:[0,1] neg_hi:[0,1]
	s_mov_b32 s26, 0xbf2c7751
	v_pk_add_f32 v[50:51], v[58:59], v[2:3]
	v_pk_add_f32 v[48:49], v[30:31], v[40:41] neg_lo:[0,1] neg_hi:[0,1]
	s_mov_b32 s6, 0x3f3d2fb0
	s_mov_b32 s16, 0xbf7ee86f
	v_pk_mul_f32 v[16:17], v[52:53], s[26:27] op_sel_hi:[1,0]
	v_pk_add_f32 v[46:47], v[40:41], v[30:31]
	v_pk_add_f32 v[44:45], v[32:33], v[38:39] neg_lo:[0,1] neg_hi:[0,1]
	s_mov_b32 s2, 0x3dbcf732
	s_mov_b32 s20, 0xbf4c4adb
	v_pk_fma_f32 v[78:79], v[50:51], s[6:7], v[16:17] op_sel:[0,0,1] op_sel_hi:[1,0,0]
	v_pk_fma_f32 v[76:77], v[50:51], s[6:7], v[16:17] op_sel:[0,0,1] op_sel_hi:[1,0,0] neg_lo:[0,0,1] neg_hi:[0,0,1]
	v_pk_mul_f32 v[18:19], v[48:49], s[16:17] op_sel_hi:[1,0]
	v_pk_add_f32 v[42:43], v[38:39], v[32:33]
	s_mov_b32 s18, 0xbf1a4643
	v_mov_b32_e32 v16, v78
	v_mov_b32_e32 v17, v77
	v_pk_fma_f32 v[88:89], v[46:47], s[2:3], v[18:19] op_sel:[0,0,1] op_sel_hi:[1,0,0]
	v_pk_fma_f32 v[80:81], v[46:47], s[2:3], v[18:19] op_sel:[0,0,1] op_sel_hi:[1,0,0] neg_lo:[0,0,1] neg_hi:[0,0,1]
	v_pk_mul_f32 v[20:21], v[44:45], s[20:21] op_sel_hi:[1,0]
	v_mov_b32_e32 v18, v88
	v_mov_b32_e32 v19, v81
	v_pk_fma_f32 v[90:91], v[42:43], s[18:19], v[20:21] op_sel:[0,0,1] op_sel_hi:[1,0,0]
	v_pk_fma_f32 v[92:93], v[42:43], s[18:19], v[20:21] op_sel:[0,0,1] op_sel_hi:[1,0,0] neg_lo:[0,0,1] neg_hi:[0,0,1]
	v_pk_add_f32 v[16:17], v[16:17], v[0:1]
	v_pk_add_f32 v[56:57], v[26:27], v[36:37] neg_lo:[0,1] neg_hi:[0,1]
	s_mov_b32 s10, 0xbe3c28d5
	v_pk_add_f32 v[16:17], v[18:19], v[16:17]
	v_mov_b32_e32 v18, v90
	v_mov_b32_e32 v19, v93
	v_pk_add_f32 v[54:55], v[36:37], v[26:27]
	s_mov_b32 s8, 0xbf7ba420
	v_pk_add_f32 v[16:17], v[18:19], v[16:17]
	v_pk_mul_f32 v[18:19], v[56:57], s[10:11] op_sel_hi:[1,0]
	s_mov_b32 s48, 0x3f06c442
	v_pk_fma_f32 v[94:95], v[54:55], s[8:9], v[18:19] op_sel:[0,0,1] op_sel_hi:[1,0,0]
	v_pk_fma_f32 v[96:97], v[54:55], s[8:9], v[18:19] op_sel:[0,0,1] op_sel_hi:[1,0,0] neg_lo:[0,0,1] neg_hi:[0,0,1]
	v_mov_b32_e32 v18, v94
	v_mov_b32_e32 v19, v97
	v_pk_add_f32 v[62:63], v[28:29], v[34:35] neg_lo:[0,1] neg_hi:[0,1]
	v_pk_add_f32 v[16:17], v[18:19], v[16:17]
	s_mov_b32 s28, 0xbf59a7d5
	v_pk_add_f32 v[60:61], v[34:35], v[28:29]
	v_pk_mul_f32 v[18:19], v[62:63], s[48:49] op_sel_hi:[1,0]
	s_mov_b32 s44, 0x3f763a35
	v_pk_fma_f32 v[98:99], v[60:61], s[28:29], v[18:19] op_sel:[0,0,1] op_sel_hi:[1,0,0]
	v_pk_fma_f32 v[100:101], v[60:61], s[28:29], v[18:19] op_sel:[0,0,1] op_sel_hi:[1,0,0] neg_lo:[0,0,1] neg_hi:[0,0,1]
	v_mov_b32_e32 v18, v98
	v_mov_b32_e32 v19, v101
	v_pk_add_f32 v[66:67], v[8:9], v[14:15] neg_lo:[0,1] neg_hi:[0,1]
	;; [unrolled: 10-line block ×3, first 2 shown]
	v_pk_add_f32 v[16:17], v[18:19], v[16:17]
	s_mov_b32 s30, 0x3ee437d1
	v_pk_add_f32 v[68:69], v[12:13], v[10:11]
	v_pk_mul_f32 v[18:19], v[70:71], s[34:35] op_sel_hi:[1,0]
	s_mov_b32 s24, 0xbf65296c
	v_pk_fma_f32 v[106:107], v[68:69], s[30:31], v[18:19] op_sel:[0,0,1] op_sel_hi:[1,0,0]
	v_pk_fma_f32 v[82:83], v[68:69], s[30:31], v[18:19] op_sel:[0,0,1] op_sel_hi:[1,0,0] neg_lo:[0,0,1] neg_hi:[0,0,1]
	v_mov_b32_e32 v18, v106
	v_mov_b32_e32 v19, v83
	v_pk_add_f32 v[16:17], v[18:19], v[16:17]
	v_pk_mul_f32 v[18:19], v[52:53], s[24:25] op_sel_hi:[1,0]
	v_pk_mul_f32 v[20:21], v[48:49], s[20:21] op_sel_hi:[1,0]
	v_pk_fma_f32 v[84:85], v[50:51], s[30:31], v[18:19] op_sel:[0,0,1] op_sel_hi:[1,0,0]
	v_pk_fma_f32 v[86:87], v[50:51], s[30:31], v[18:19] op_sel:[0,0,1] op_sel_hi:[1,0,0] neg_lo:[0,0,1] neg_hi:[0,0,1]
	v_mov_b32_e32 v18, v84
	v_mov_b32_e32 v19, v87
	v_pk_fma_f32 v[108:109], v[46:47], s[18:19], v[20:21] op_sel:[0,0,1] op_sel_hi:[1,0,0]
	v_pk_fma_f32 v[110:111], v[46:47], s[18:19], v[20:21] op_sel:[0,0,1] op_sel_hi:[1,0,0] neg_lo:[0,0,1] neg_hi:[0,0,1]
	v_mov_b32_e32 v20, v108
	v_mov_b32_e32 v21, v111
	v_pk_add_f32 v[18:19], v[18:19], v[0:1]
	s_mov_b32 s36, 0x3e3c28d5
	v_pk_add_f32 v[18:19], v[20:21], v[18:19]
	v_pk_mul_f32 v[20:21], v[44:45], s[36:37] op_sel_hi:[1,0]
	s_mov_b32 s36, 0x3f2c7751
	v_pk_fma_f32 v[112:113], v[42:43], s[8:9], v[20:21] op_sel:[0,0,1] op_sel_hi:[1,0,0]
	v_pk_fma_f32 v[114:115], v[42:43], s[8:9], v[20:21] op_sel:[0,0,1] op_sel_hi:[1,0,0] neg_lo:[0,0,1] neg_hi:[0,0,1]
	v_mov_b32_e32 v20, v112
	v_mov_b32_e32 v21, v115
	v_pk_add_f32 v[18:19], v[20:21], v[18:19]
	v_pk_mul_f32 v[20:21], v[56:57], s[44:45] op_sel_hi:[1,0]
	s_mov_b32 s46, 0xbeb8f4ab
	v_pk_fma_f32 v[116:117], v[54:55], s[22:23], v[20:21] op_sel:[0,0,1] op_sel_hi:[1,0,0]
	v_pk_fma_f32 v[118:119], v[54:55], s[22:23], v[20:21] op_sel:[0,0,1] op_sel_hi:[1,0,0] neg_lo:[0,0,1] neg_hi:[0,0,1]
	v_mov_b32_e32 v20, v116
	v_mov_b32_e32 v21, v119
	;; [unrolled: 7-line block ×5, first 2 shown]
	v_pk_add_f32 v[74:75], v[4:5], v[6:7] neg_lo:[0,1] neg_hi:[0,1]
	v_pk_add_f32 v[20:21], v[20:21], v[18:19]
	v_pk_add_f32 v[72:73], v[6:7], v[4:5]
	v_pk_mul_f32 v[18:19], v[74:75], s[42:43] op_sel_hi:[1,0]
	v_pk_mul_f32 v[22:23], v[74:75], s[40:41] op_sel_hi:[1,0]
	v_pk_fma_f32 v[158:159], v[72:73], s[38:39], v[18:19] op_sel:[0,0,1] op_sel_hi:[1,0,0]
	v_pk_fma_f32 v[162:163], v[72:73], s[38:39], v[18:19] op_sel:[0,0,1] op_sel_hi:[1,0,0] neg_lo:[0,0,1] neg_hi:[0,0,1]
	v_pk_fma_f32 v[132:133], v[72:73], s[28:29], v[22:23] op_sel:[0,0,1] op_sel_hi:[1,0,0]
	v_pk_fma_f32 v[134:135], v[72:73], s[28:29], v[22:23] op_sel:[0,0,1] op_sel_hi:[1,0,0] neg_lo:[0,0,1] neg_hi:[0,0,1]
	v_mov_b32_e32 v18, v158
	v_mov_b32_e32 v19, v163
	;; [unrolled: 1-line block ×4, first 2 shown]
	v_pk_add_f32 v[18:19], v[18:19], v[16:17]
	v_pk_add_f32 v[16:17], v[22:23], v[20:21]
	v_pk_mul_f32 v[20:21], v[52:53], s[16:17] op_sel_hi:[1,0]
	v_pk_mul_f32 v[22:23], v[48:49], s[10:11] op_sel_hi:[1,0]
	v_pk_fma_f32 v[136:137], v[50:51], s[2:3], v[20:21] op_sel:[0,0,1] op_sel_hi:[1,0,0]
	v_pk_fma_f32 v[138:139], v[50:51], s[2:3], v[20:21] op_sel:[0,0,1] op_sel_hi:[1,0,0] neg_lo:[0,0,1] neg_hi:[0,0,1]
	v_mov_b32_e32 v20, v136
	v_mov_b32_e32 v21, v139
	v_pk_fma_f32 v[140:141], v[46:47], s[8:9], v[22:23] op_sel:[0,0,1] op_sel_hi:[1,0,0]
	v_pk_fma_f32 v[142:143], v[46:47], s[8:9], v[22:23] op_sel:[0,0,1] op_sel_hi:[1,0,0] neg_lo:[0,0,1] neg_hi:[0,0,1]
	v_pk_add_f32 v[20:21], v[20:21], v[0:1]
	v_mov_b32_e32 v22, v140
	v_mov_b32_e32 v23, v143
	v_pk_add_f32 v[20:21], v[22:23], v[20:21]
	v_pk_mul_f32 v[22:23], v[44:45], s[44:45] op_sel_hi:[1,0]
	s_mov_b32 s54, 0x3f4c4adb
	v_pk_fma_f32 v[144:145], v[42:43], s[22:23], v[22:23] op_sel:[0,0,1] op_sel_hi:[1,0,0]
	v_pk_fma_f32 v[146:147], v[42:43], s[22:23], v[22:23] op_sel:[0,0,1] op_sel_hi:[1,0,0] neg_lo:[0,0,1] neg_hi:[0,0,1]
	v_mov_b32_e32 v22, v144
	v_mov_b32_e32 v23, v147
	v_pk_add_f32 v[20:21], v[22:23], v[20:21]
	v_pk_mul_f32 v[22:23], v[56:57], s[42:43] op_sel_hi:[1,0]
	s_mov_b32 s50, 0xbf763a35
	v_pk_fma_f32 v[148:149], v[54:55], s[38:39], v[22:23] op_sel:[0,0,1] op_sel_hi:[1,0,0]
	v_pk_fma_f32 v[150:151], v[54:55], s[38:39], v[22:23] op_sel:[0,0,1] op_sel_hi:[1,0,0] neg_lo:[0,0,1] neg_hi:[0,0,1]
	v_mov_b32_e32 v22, v148
	v_mov_b32_e32 v23, v151
	v_pk_add_f32 v[20:21], v[22:23], v[20:21]
	v_pk_mul_f32 v[22:23], v[62:63], s[24:25] op_sel_hi:[1,0]
	s_mov_b32 s52, 0x3f7ee86f
	v_pk_fma_f32 v[152:153], v[60:61], s[30:31], v[22:23] op_sel:[0,0,1] op_sel_hi:[1,0,0]
	v_pk_fma_f32 v[154:155], v[60:61], s[30:31], v[22:23] op_sel:[0,0,1] op_sel_hi:[1,0,0] neg_lo:[0,0,1] neg_hi:[0,0,1]
	v_mov_b32_e32 v22, v152
	v_mov_b32_e32 v23, v155
	v_pk_add_f32 v[20:21], v[22:23], v[20:21]
	v_pk_mul_f32 v[22:23], v[66:67], s[40:41] op_sel_hi:[1,0]
	v_pk_mul_f32 v[208:209], v[48:49], s[26:27] op_sel_hi:[1,0]
	v_pk_fma_f32 v[156:157], v[64:65], s[28:29], v[22:23] op_sel:[0,0,1] op_sel_hi:[1,0,0]
	v_pk_fma_f32 v[160:161], v[64:65], s[28:29], v[22:23] op_sel:[0,0,1] op_sel_hi:[1,0,0] neg_lo:[0,0,1] neg_hi:[0,0,1]
	v_mov_b32_e32 v22, v156
	v_mov_b32_e32 v23, v161
	v_pk_add_f32 v[20:21], v[22:23], v[20:21]
	v_pk_mul_f32 v[22:23], v[70:71], s[54:55] op_sel_hi:[1,0]
	v_pk_fma_f32 v[210:211], v[46:47], s[6:7], v[208:209] op_sel:[0,0,1] op_sel_hi:[1,0,0]
	v_pk_fma_f32 v[164:165], v[68:69], s[18:19], v[22:23] op_sel:[0,0,1] op_sel_hi:[1,0,0]
	v_pk_fma_f32 v[166:167], v[68:69], s[18:19], v[22:23] op_sel:[0,0,1] op_sel_hi:[1,0,0] neg_lo:[0,0,1] neg_hi:[0,0,1]
	v_mov_b32_e32 v22, v164
	v_mov_b32_e32 v23, v167
	v_pk_add_f32 v[20:21], v[22:23], v[20:21]
	v_pk_mul_f32 v[22:23], v[48:49], s[48:49] op_sel_hi:[1,0]
	v_pk_fma_f32 v[208:209], v[46:47], s[6:7], v[208:209] op_sel:[0,0,1] op_sel_hi:[1,0,0] neg_lo:[0,0,1] neg_hi:[0,0,1]
	v_pk_fma_f32 v[198:199], v[46:47], s[28:29], v[22:23] op_sel:[0,0,1] op_sel_hi:[1,0,0]
	v_pk_fma_f32 v[168:169], v[46:47], s[28:29], v[22:23] op_sel:[0,0,1] op_sel_hi:[1,0,0] neg_lo:[0,0,1] neg_hi:[0,0,1]
	v_pk_mul_f32 v[22:23], v[52:53], s[50:51] op_sel_hi:[1,0]
	v_mov_b32_e32 v24, v198
	v_pk_fma_f32 v[200:201], v[50:51], s[22:23], v[22:23] op_sel:[0,0,1] op_sel_hi:[1,0,0]
	v_pk_fma_f32 v[170:171], v[50:51], s[22:23], v[22:23] op_sel:[0,0,1] op_sel_hi:[1,0,0] neg_lo:[0,0,1] neg_hi:[0,0,1]
	v_mov_b32_e32 v22, v200
	v_mov_b32_e32 v23, v171
	v_pk_add_f32 v[22:23], v[22:23], v[0:1]
	v_mov_b32_e32 v25, v169
	v_pk_add_f32 v[22:23], v[24:25], v[22:23]
	v_pk_mul_f32 v[24:25], v[44:45], s[36:37] op_sel_hi:[1,0]
	v_mov_b32_e32 v212, v210
	v_pk_fma_f32 v[202:203], v[42:43], s[6:7], v[24:25] op_sel:[0,0,1] op_sel_hi:[1,0,0]
	v_pk_fma_f32 v[172:173], v[42:43], s[6:7], v[24:25] op_sel:[0,0,1] op_sel_hi:[1,0,0] neg_lo:[0,0,1] neg_hi:[0,0,1]
	v_mov_b32_e32 v24, v202
	v_mov_b32_e32 v25, v173
	v_pk_add_f32 v[22:23], v[24:25], v[22:23]
	v_pk_mul_f32 v[24:25], v[56:57], s[24:25] op_sel_hi:[1,0]
	v_mov_b32_e32 v213, v209
	v_pk_fma_f32 v[174:175], v[54:55], s[30:31], v[24:25] op_sel:[0,0,1] op_sel_hi:[1,0,0]
	v_pk_fma_f32 v[176:177], v[54:55], s[30:31], v[24:25] op_sel:[0,0,1] op_sel_hi:[1,0,0] neg_lo:[0,0,1] neg_hi:[0,0,1]
	v_mov_b32_e32 v24, v174
	v_mov_b32_e32 v25, v177
	v_pk_add_f32 v[22:23], v[24:25], v[22:23]
	v_pk_mul_f32 v[24:25], v[62:63], s[10:11] op_sel_hi:[1,0]
	v_pk_mul_f32 v[214:215], v[44:45], s[24:25] op_sel_hi:[1,0]
	v_pk_fma_f32 v[178:179], v[60:61], s[8:9], v[24:25] op_sel:[0,0,1] op_sel_hi:[1,0,0]
	v_pk_fma_f32 v[180:181], v[60:61], s[8:9], v[24:25] op_sel:[0,0,1] op_sel_hi:[1,0,0] neg_lo:[0,0,1] neg_hi:[0,0,1]
	v_mov_b32_e32 v24, v178
	v_mov_b32_e32 v25, v181
	v_pk_add_f32 v[22:23], v[24:25], v[22:23]
	v_pk_mul_f32 v[24:25], v[66:67], s[52:53] op_sel_hi:[1,0]
	v_pk_mul_f32 v[218:219], v[56:57], s[16:17] op_sel_hi:[1,0]
	;; [unrolled: 7-line block ×5, first 2 shown]
	v_pk_fma_f32 v[190:191], v[72:73], s[18:19], v[20:21] op_sel:[0,0,1] op_sel_hi:[1,0,0]
	v_pk_fma_f32 v[192:193], v[72:73], s[18:19], v[20:21] op_sel:[0,0,1] op_sel_hi:[1,0,0] neg_lo:[0,0,1] neg_hi:[0,0,1]
	v_mov_b32_e32 v20, v190
	v_mov_b32_e32 v21, v193
	v_pk_add_f32 v[20:21], v[20:21], v[24:25]
	v_pk_mul_f32 v[24:25], v[52:53], s[46:47] op_sel_hi:[1,0]
	s_load_dwordx2 s[24:25], s[0:1], 0x20
	s_nop 0
	s_load_dwordx2 s[0:1], s[0:1], 0x8
	v_pk_fma_f32 v[206:207], v[50:51], s[38:39], v[24:25] op_sel:[0,0,1] op_sel_hi:[1,0,0]
	v_pk_fma_f32 v[204:205], v[50:51], s[38:39], v[24:25] op_sel:[0,0,1] op_sel_hi:[1,0,0] neg_lo:[0,0,1] neg_hi:[0,0,1]
	v_mov_b32_e32 v24, v206
	v_mov_b32_e32 v25, v205
	v_pk_add_f32 v[24:25], v[24:25], v[0:1]
	v_pk_mul_f32 v[234:235], v[74:75], s[10:11] op_sel_hi:[1,0]
	v_pk_add_f32 v[24:25], v[212:213], v[24:25]
	v_pk_fma_f32 v[212:213], v[42:43], s[30:31], v[214:215] op_sel:[0,0,1] op_sel_hi:[1,0,0]
	v_pk_fma_f32 v[214:215], v[42:43], s[30:31], v[214:215] op_sel:[0,0,1] op_sel_hi:[1,0,0] neg_lo:[0,0,1] neg_hi:[0,0,1]
	v_mov_b32_e32 v216, v212
	v_mov_b32_e32 v217, v215
	v_pk_add_f32 v[24:25], v[216:217], v[24:25]
	v_pk_fma_f32 v[216:217], v[54:55], s[2:3], v[218:219] op_sel:[0,0,1] op_sel_hi:[1,0,0]
	v_pk_fma_f32 v[218:219], v[54:55], s[2:3], v[218:219] op_sel:[0,0,1] op_sel_hi:[1,0,0] neg_lo:[0,0,1] neg_hi:[0,0,1]
	v_mov_b32_e32 v220, v216
	v_mov_b32_e32 v221, v219
	;; [unrolled: 5-line block ×5, first 2 shown]
	v_pk_add_f32 v[24:25], v[232:233], v[24:25]
	v_pk_fma_f32 v[232:233], v[72:73], s[8:9], v[234:235] op_sel:[0,0,1] op_sel_hi:[1,0,0]
	v_pk_fma_f32 v[234:235], v[72:73], s[8:9], v[234:235] op_sel:[0,0,1] op_sel_hi:[1,0,0] neg_lo:[0,0,1] neg_hi:[0,0,1]
	v_accvgpr_read_b32 v78, a4
	v_mov_b32_e32 v238, v232
	v_mov_b32_e32 v239, v235
	v_mul_lo_u16_e32 v77, 17, v78
	v_pk_add_f32 v[24:25], v[238:239], v[24:25]
	v_accvgpr_write_b32 a5, v77
	s_waitcnt lgkmcnt(0)
	s_barrier
	s_and_saveexec_b64 s[48:49], s[4:5]
	s_cbranch_execz .LBB0_7
; %bb.6:
	v_pk_add_f32 v[2:3], v[2:3], v[0:1]
	v_mov_b32_e32 v205, v207
	v_pk_add_f32 v[2:3], v[30:31], v[2:3]
	v_mov_b32_e32 v209, v211
	;; [unrolled: 2-line block ×7, first 2 shown]
	v_pk_add_f32 v[2:3], v[4:5], v[2:3]
	v_pk_add_f32 v[4:5], v[204:205], v[0:1]
	;; [unrolled: 1-line block ×15, first 2 shown]
	v_mov_b32_e32 v235, v233
	v_accvgpr_read_b32 v6, a5
	v_pk_add_f32 v[2:3], v[58:59], v[2:3]
	v_pk_add_f32 v[4:5], v[234:235], v[4:5]
	v_add_lshl_u32 v116, v236, v6, 3
	v_mov_b32_e32 v77, v79
	v_mov_b32_e32 v87, v85
	ds_write2_b64 v116, v[2:3], v[4:5] offset1:1
	v_mov_b32_e32 v81, v89
	v_pk_add_f32 v[2:3], v[76:77], v[0:1]
	v_pk_add_f32 v[4:5], v[86:87], v[0:1]
	v_mov_b32_e32 v111, v109
	v_pk_add_f32 v[2:3], v[80:81], v[2:3]
	v_mov_b32_e32 v93, v91
	;; [unrolled: 2-line block ×13, first 2 shown]
	v_mov_b32_e32 v171, v201
	v_pk_add_f32 v[2:3], v[162:163], v[2:3]
	v_pk_add_f32 v[4:5], v[134:135], v[4:5]
	v_mov_b32_e32 v139, v137
	v_mov_b32_e32 v169, v199
	ds_write2_b64 v116, v[2:3], v[4:5] offset0:2 offset1:3
	v_pk_add_f32 v[2:3], v[138:139], v[0:1]
	v_mov_b32_e32 v143, v141
	v_pk_add_f32 v[4:5], v[170:171], v[0:1]
	v_mov_b32_e32 v173, v203
	;; [unrolled: 2-line block ×3, first 2 shown]
	v_pk_add_f32 v[4:5], v[168:169], v[4:5]
	v_pk_add_f32 v[2:3], v[146:147], v[2:3]
	v_mov_b32_e32 v151, v149
	v_pk_add_f32 v[4:5], v[172:173], v[4:5]
	v_mov_b32_e32 v177, v175
	;; [unrolled: 2-line block ×10, first 2 shown]
	v_pk_add_f32 v[2:3], v[196:197], v[2:3]
	v_pk_add_f32 v[4:5], v[192:193], v[4:5]
	ds_write2_b64 v116, v[2:3], v[4:5] offset0:4 offset1:5
	v_pk_mul_f32 v[2:3], v[52:53], s[20:21] op_sel_hi:[1,0]
	v_pk_mul_f32 v[8:9], v[48:49], s[44:45] op_sel_hi:[1,0]
	v_pk_fma_f32 v[4:5], v[50:51], s[18:19], v[2:3] op_sel:[0,0,1] op_sel_hi:[1,0,0] neg_lo:[0,0,1] neg_hi:[0,0,1]
	v_pk_fma_f32 v[2:3], v[50:51], s[18:19], v[2:3] op_sel:[0,0,1] op_sel_hi:[1,0,0]
	v_mov_b32_e32 v6, v4
	v_mov_b32_e32 v7, v3
	v_pk_fma_f32 v[10:11], v[46:47], s[22:23], v[8:9] op_sel:[0,0,1] op_sel_hi:[1,0,0] neg_lo:[0,0,1] neg_hi:[0,0,1]
	v_pk_fma_f32 v[8:9], v[46:47], s[22:23], v[8:9] op_sel:[0,0,1] op_sel_hi:[1,0,0]
	v_pk_add_f32 v[6:7], v[6:7], v[0:1]
	v_mov_b32_e32 v12, v10
	v_mov_b32_e32 v13, v9
	v_pk_add_f32 v[6:7], v[12:13], v[6:7]
	v_pk_mul_f32 v[12:13], v[44:45], s[46:47] op_sel_hi:[1,0]
	v_pk_mul_f32 v[84:85], v[48:49], s[34:35] op_sel_hi:[1,0]
	v_pk_fma_f32 v[14:15], v[42:43], s[38:39], v[12:13] op_sel:[0,0,1] op_sel_hi:[1,0,0] neg_lo:[0,0,1] neg_hi:[0,0,1]
	v_pk_fma_f32 v[12:13], v[42:43], s[38:39], v[12:13] op_sel:[0,0,1] op_sel_hi:[1,0,0]
	v_mov_b32_e32 v26, v14
	v_mov_b32_e32 v27, v13
	v_pk_add_f32 v[6:7], v[26:27], v[6:7]
	v_pk_mul_f32 v[26:27], v[56:57], s[40:41] op_sel_hi:[1,0]
	v_pk_fma_f32 v[86:87], v[46:47], s[30:31], v[84:85] op_sel:[0,0,1] op_sel_hi:[1,0,0] neg_lo:[0,0,1] neg_hi:[0,0,1]
	v_pk_fma_f32 v[28:29], v[54:55], s[28:29], v[26:27] op_sel:[0,0,1] op_sel_hi:[1,0,0] neg_lo:[0,0,1] neg_hi:[0,0,1]
	v_pk_fma_f32 v[26:27], v[54:55], s[28:29], v[26:27] op_sel:[0,0,1] op_sel_hi:[1,0,0]
	v_mov_b32_e32 v30, v28
	v_mov_b32_e32 v31, v27
	v_pk_add_f32 v[6:7], v[30:31], v[6:7]
	v_pk_mul_f32 v[30:31], v[62:63], s[52:53] op_sel_hi:[1,0]
	v_pk_fma_f32 v[84:85], v[46:47], s[30:31], v[84:85] op_sel:[0,0,1] op_sel_hi:[1,0,0]
	v_pk_fma_f32 v[32:33], v[60:61], s[2:3], v[30:31] op_sel:[0,0,1] op_sel_hi:[1,0,0] neg_lo:[0,0,1] neg_hi:[0,0,1]
	v_pk_fma_f32 v[30:31], v[60:61], s[2:3], v[30:31] op_sel:[0,0,1] op_sel_hi:[1,0,0]
	v_mov_b32_e32 v34, v32
	v_mov_b32_e32 v35, v31
	v_pk_add_f32 v[6:7], v[34:35], v[6:7]
	v_pk_mul_f32 v[34:35], v[66:67], s[26:27] op_sel_hi:[1,0]
	v_mov_b32_e32 v88, v86
	v_pk_fma_f32 v[36:37], v[64:65], s[6:7], v[34:35] op_sel:[0,0,1] op_sel_hi:[1,0,0] neg_lo:[0,0,1] neg_hi:[0,0,1]
	v_pk_fma_f32 v[34:35], v[64:65], s[6:7], v[34:35] op_sel:[0,0,1] op_sel_hi:[1,0,0]
	v_mov_b32_e32 v38, v36
	v_mov_b32_e32 v39, v35
	v_pk_add_f32 v[6:7], v[38:39], v[6:7]
	v_pk_mul_f32 v[38:39], v[70:71], s[10:11] op_sel_hi:[1,0]
	v_mov_b32_e32 v89, v85
	v_pk_fma_f32 v[40:41], v[68:69], s[8:9], v[38:39] op_sel:[0,0,1] op_sel_hi:[1,0,0] neg_lo:[0,0,1] neg_hi:[0,0,1]
	v_pk_fma_f32 v[38:39], v[68:69], s[8:9], v[38:39] op_sel:[0,0,1] op_sel_hi:[1,0,0]
	v_mov_b32_e32 v58, v40
	v_mov_b32_e32 v59, v39
	v_pk_add_f32 v[6:7], v[58:59], v[6:7]
	v_pk_mul_f32 v[58:59], v[74:75], s[34:35] op_sel_hi:[1,0]
	v_pk_mul_f32 v[48:49], v[48:49], s[42:43] op_sel_hi:[1,0]
	v_pk_fma_f32 v[76:77], v[72:73], s[30:31], v[58:59] op_sel:[0,0,1] op_sel_hi:[1,0,0] neg_lo:[0,0,1] neg_hi:[0,0,1]
	v_pk_fma_f32 v[58:59], v[72:73], s[30:31], v[58:59] op_sel:[0,0,1] op_sel_hi:[1,0,0]
	v_mov_b32_e32 v78, v76
	v_mov_b32_e32 v79, v59
	v_pk_add_f32 v[6:7], v[78:79], v[6:7]
	v_pk_mul_f32 v[78:79], v[52:53], s[40:41] op_sel_hi:[1,0]
	v_mov_b32_e32 v3, v5
	v_pk_fma_f32 v[80:81], v[50:51], s[28:29], v[78:79] op_sel:[0,0,1] op_sel_hi:[1,0,0] neg_lo:[0,0,1] neg_hi:[0,0,1]
	v_pk_fma_f32 v[78:79], v[50:51], s[28:29], v[78:79] op_sel:[0,0,1] op_sel_hi:[1,0,0]
	v_mov_b32_e32 v82, v80
	v_mov_b32_e32 v83, v79
	v_pk_add_f32 v[82:83], v[82:83], v[0:1]
	v_mov_b32_e32 v79, v81
	v_pk_add_f32 v[82:83], v[88:89], v[82:83]
	v_pk_mul_f32 v[88:89], v[44:45], s[16:17] op_sel_hi:[1,0]
	v_pk_mul_f32 v[44:45], v[44:45], s[40:41] op_sel_hi:[1,0]
	v_pk_fma_f32 v[90:91], v[42:43], s[2:3], v[88:89] op_sel:[0,0,1] op_sel_hi:[1,0,0] neg_lo:[0,0,1] neg_hi:[0,0,1]
	v_pk_fma_f32 v[88:89], v[42:43], s[2:3], v[88:89] op_sel:[0,0,1] op_sel_hi:[1,0,0]
	v_mov_b32_e32 v92, v90
	v_mov_b32_e32 v93, v89
	v_pk_add_f32 v[82:83], v[92:93], v[82:83]
	v_pk_mul_f32 v[92:93], v[56:57], s[54:55] op_sel_hi:[1,0]
	v_mov_b32_e32 v85, v87
	v_pk_fma_f32 v[94:95], v[54:55], s[18:19], v[92:93] op_sel:[0,0,1] op_sel_hi:[1,0,0] neg_lo:[0,0,1] neg_hi:[0,0,1]
	v_pk_fma_f32 v[92:93], v[54:55], s[18:19], v[92:93] op_sel:[0,0,1] op_sel_hi:[1,0,0]
	v_mov_b32_e32 v96, v94
	v_mov_b32_e32 v97, v93
	v_pk_add_f32 v[82:83], v[96:97], v[82:83]
	v_pk_mul_f32 v[96:97], v[62:63], s[46:47] op_sel_hi:[1,0]
	v_mov_b32_e32 v9, v11
	;; [unrolled: 7-line block ×5, first 2 shown]
	v_pk_fma_f32 v[110:111], v[72:73], s[22:23], v[108:109] op_sel:[0,0,1] op_sel_hi:[1,0,0] neg_lo:[0,0,1] neg_hi:[0,0,1]
	v_pk_fma_f32 v[108:109], v[72:73], s[22:23], v[108:109] op_sel:[0,0,1] op_sel_hi:[1,0,0]
	v_mov_b32_e32 v112, v110
	v_mov_b32_e32 v113, v109
	v_pk_add_f32 v[82:83], v[112:113], v[82:83]
	ds_write2_b64 v116, v[6:7], v[82:83] offset0:6 offset1:7
	v_pk_mul_f32 v[6:7], v[52:53], s[10:11] op_sel_hi:[1,0]
	v_pk_fma_f32 v[82:83], v[46:47], s[38:39], v[48:49] op_sel:[0,0,1] op_sel_hi:[1,0,0] neg_lo:[0,0,1] neg_hi:[0,0,1]
	v_pk_fma_f32 v[52:53], v[50:51], s[8:9], v[6:7] op_sel:[0,0,1] op_sel_hi:[1,0,0] neg_lo:[0,0,1] neg_hi:[0,0,1]
	v_pk_fma_f32 v[6:7], v[50:51], s[8:9], v[6:7] op_sel:[0,0,1] op_sel_hi:[1,0,0]
	v_mov_b32_e32 v50, v52
	v_mov_b32_e32 v51, v7
	v_pk_fma_f32 v[46:47], v[46:47], s[38:39], v[48:49] op_sel:[0,0,1] op_sel_hi:[1,0,0]
	v_pk_add_f32 v[50:51], v[50:51], v[0:1]
	v_mov_b32_e32 v48, v82
	v_mov_b32_e32 v49, v47
	v_pk_add_f32 v[48:49], v[48:49], v[50:51]
	v_pk_fma_f32 v[50:51], v[42:43], s[28:29], v[44:45] op_sel:[0,0,1] op_sel_hi:[1,0,0] neg_lo:[0,0,1] neg_hi:[0,0,1]
	v_pk_fma_f32 v[42:43], v[42:43], s[28:29], v[44:45] op_sel:[0,0,1] op_sel_hi:[1,0,0]
	v_mov_b32_e32 v44, v50
	v_mov_b32_e32 v45, v43
	v_pk_add_f32 v[44:45], v[44:45], v[48:49]
	v_pk_mul_f32 v[48:49], v[56:57], s[36:37] op_sel_hi:[1,0]
	v_mov_b32_e32 v7, v53
	v_pk_fma_f32 v[56:57], v[54:55], s[6:7], v[48:49] op_sel:[0,0,1] op_sel_hi:[1,0,0] neg_lo:[0,0,1] neg_hi:[0,0,1]
	v_pk_fma_f32 v[48:49], v[54:55], s[6:7], v[48:49] op_sel:[0,0,1] op_sel_hi:[1,0,0]
	v_mov_b32_e32 v54, v56
	v_mov_b32_e32 v55, v49
	v_pk_add_f32 v[44:45], v[54:55], v[44:45]
	v_pk_mul_f32 v[54:55], v[62:63], s[20:21] op_sel_hi:[1,0]
	v_pk_add_f32 v[6:7], v[6:7], v[0:1]
	v_pk_fma_f32 v[62:63], v[60:61], s[18:19], v[54:55] op_sel:[0,0,1] op_sel_hi:[1,0,0] neg_lo:[0,0,1] neg_hi:[0,0,1]
	v_pk_fma_f32 v[54:55], v[60:61], s[18:19], v[54:55] op_sel:[0,0,1] op_sel_hi:[1,0,0]
	v_mov_b32_e32 v60, v62
	v_mov_b32_e32 v61, v55
	v_pk_add_f32 v[44:45], v[60:61], v[44:45]
	v_pk_mul_f32 v[60:61], v[66:67], s[34:35] op_sel_hi:[1,0]
	v_mov_b32_e32 v47, v83
	v_pk_fma_f32 v[66:67], v[64:65], s[30:31], v[60:61] op_sel:[0,0,1] op_sel_hi:[1,0,0] neg_lo:[0,0,1] neg_hi:[0,0,1]
	v_pk_fma_f32 v[60:61], v[64:65], s[30:31], v[60:61] op_sel:[0,0,1] op_sel_hi:[1,0,0]
	v_mov_b32_e32 v64, v66
	v_mov_b32_e32 v65, v61
	v_pk_add_f32 v[44:45], v[64:65], v[44:45]
	v_pk_mul_f32 v[64:65], v[70:71], s[50:51] op_sel_hi:[1,0]
	v_pk_add_f32 v[6:7], v[46:47], v[6:7]
	v_mov_b32_e32 v43, v51
	v_pk_fma_f32 v[70:71], v[68:69], s[22:23], v[64:65] op_sel:[0,0,1] op_sel_hi:[1,0,0] neg_lo:[0,0,1] neg_hi:[0,0,1]
	v_pk_fma_f32 v[64:65], v[68:69], s[22:23], v[64:65] op_sel:[0,0,1] op_sel_hi:[1,0,0]
	v_pk_add_f32 v[6:7], v[42:43], v[6:7]
	v_mov_b32_e32 v49, v57
	v_mov_b32_e32 v68, v70
	;; [unrolled: 1-line block ×3, first 2 shown]
	v_pk_add_f32 v[6:7], v[48:49], v[6:7]
	v_mov_b32_e32 v55, v63
	v_pk_add_f32 v[44:45], v[68:69], v[44:45]
	v_pk_mul_f32 v[68:69], v[74:75], s[52:53] op_sel_hi:[1,0]
	v_pk_add_f32 v[6:7], v[54:55], v[6:7]
	v_mov_b32_e32 v61, v67
	v_pk_fma_f32 v[74:75], v[72:73], s[2:3], v[68:69] op_sel:[0,0,1] op_sel_hi:[1,0,0] neg_lo:[0,0,1] neg_hi:[0,0,1]
	v_pk_fma_f32 v[68:69], v[72:73], s[2:3], v[68:69] op_sel:[0,0,1] op_sel_hi:[1,0,0]
	v_pk_add_f32 v[6:7], v[60:61], v[6:7]
	v_mov_b32_e32 v65, v71
	v_mov_b32_e32 v72, v74
	v_mov_b32_e32 v73, v69
	v_pk_add_f32 v[6:7], v[64:65], v[6:7]
	v_mov_b32_e32 v69, v75
	v_pk_add_f32 v[44:45], v[72:73], v[44:45]
	v_pk_add_f32 v[6:7], v[68:69], v[6:7]
	ds_write2_b64 v116, v[44:45], v[6:7] offset0:8 offset1:9
	v_pk_add_f32 v[6:7], v[78:79], v[0:1]
	v_pk_add_f32 v[0:1], v[2:3], v[0:1]
	;; [unrolled: 1-line block ×6, first 2 shown]
	v_mov_b32_e32 v27, v29
	v_pk_add_f32 v[6:7], v[92:93], v[6:7]
	v_mov_b32_e32 v97, v99
	v_pk_add_f32 v[0:1], v[26:27], v[0:1]
	;; [unrolled: 2-line block ×9, first 2 shown]
	v_pk_add_f32 v[0:1], v[58:59], v[0:1]
	ds_write2_b64 v116, v[6:7], v[0:1] offset0:10 offset1:11
	ds_write2_b64 v116, v[20:21], v[22:23] offset0:12 offset1:13
	;; [unrolled: 1-line block ×3, first 2 shown]
	ds_write_b64 v116, v[24:25] offset:128
.LBB0_7:
	s_or_b64 exec, exec, s[48:49]
	v_accvgpr_read_b32 v2, a4
	v_add_lshl_u32 v164, v236, v2, 3
	v_add_u32_e32 v0, 0x400, v164
	s_waitcnt lgkmcnt(0)
	s_barrier
	ds_read2_b64 v[64:67], v0 offset0:93 offset1:195
	v_add_u32_e32 v0, 0xc00, v164
	ds_read2_b64 v[60:63], v0 offset0:58 offset1:160
	v_add_u32_e32 v0, 0x1000, v164
	;; [unrolled: 2-line block ×4, first 2 shown]
	ds_read2_b64 v[28:31], v164 offset1:102
	ds_read2_b64 v[40:43], v0 offset0:81 offset1:183
	v_cmp_gt_u16_e64 s[2:3], 17, v2
                                        ; implicit-def: $vgpr0
	s_and_saveexec_b64 s[6:7], s[2:3]
	s_cbranch_execz .LBB0_9
; %bb.8:
	v_add_u32_e32 v0, 0x600, v164
	v_add_u32_e32 v1, 0x2200, v164
	ds_read2_b64 v[20:23], v0 offset0:12 offset1:233
	v_add_u32_e32 v0, 0x1400, v164
	ds_read2_b64 v[24:27], v1 offset1:221
	ds_read2_b64 v[16:19], v0 offset0:6 offset1:227
	s_waitcnt lgkmcnt(1)
	v_mov_b32_e32 v0, v27
.LBB0_9:
	s_or_b64 exec, exec, s[6:7]
	v_accvgpr_read_b32 v6, a4
	v_add_u32_e32 v1, 0xcc, v6
	s_mov_b32 s6, 0xf0f1
	v_mul_u32_u24_sdwa v2, v1, s6 dst_sel:DWORD dst_unused:UNUSED_PAD src0_sel:WORD_0 src1_sel:DWORD
	v_lshrrev_b32_e32 v2, 20, v2
	v_mul_lo_u16_e32 v2, 17, v2
	v_sub_u16_e32 v1, v1, v2
	v_mul_lo_u16_e32 v2, 40, v1
	v_mov_b32_e32 v3, 0
	v_lshl_add_u64 v[2:3], s[0:1], 0, v[2:3]
	global_load_dwordx4 v[74:77], v[2:3], off
	global_load_dwordx4 v[80:83], v[2:3], off offset:16
	global_load_dwordx2 v[78:79], v[2:3], off offset:32
	s_movk_i32 s17, 0xf1
	v_mul_lo_u16_sdwa v3, v6, s17 dst_sel:DWORD dst_unused:UNUSED_PAD src0_sel:BYTE_0 src1_sel:DWORD
	v_lshrrev_b16_e32 v70, 12, v3
	v_mul_lo_u16_e32 v3, 17, v70
	v_sub_u16_e32 v3, v6, v3
	v_and_b32_e32 v71, 0xff, v3
	v_accvgpr_write_b32 a3, v1
	v_add_u16_e32 v1, 0x66, v6
	v_mad_u64_u32 v[6:7], s[6:7], v71, 40, s[0:1]
	s_load_dwordx4 s[8:11], s[24:25], 0x0
	global_load_dwordx4 v[8:11], v[6:7], off offset:16
	global_load_dwordx4 v[12:15], v[6:7], off
	v_mul_lo_u16_sdwa v3, v1, s17 dst_sel:DWORD dst_unused:UNUSED_PAD src0_sel:BYTE_0 src1_sel:DWORD
	v_lshrrev_b16_e32 v72, 12, v3
	v_mul_lo_u16_e32 v3, 17, v72
	v_sub_u16_e32 v1, v1, v3
	v_and_b32_e32 v73, 0xff, v1
	v_mad_u64_u32 v[68:69], s[20:21], v73, 40, s[0:1]
	global_load_dwordx2 v[86:87], v[6:7], off offset:32
	global_load_dwordx2 v[84:85], v[68:69], off offset:32
	global_load_dwordx4 v[32:35], v[68:69], off offset:16
	global_load_dwordx4 v[36:39], v[68:69], off
	s_waitcnt lgkmcnt(0)
	v_mov_b32_e32 v2, v17
	v_mov_b32_e32 v4, v25
	;; [unrolled: 1-line block ×6, first 2 shown]
	s_mov_b32 s6, 0x3f5db3d7
	s_mov_b32 s7, 0xbf5db3d7
	s_mov_b32 s16, 0.5
	s_mov_b32 s17, s6
	s_mov_b32 s18, s6
	;; [unrolled: 1-line block ×3, first 2 shown]
	s_barrier
	s_waitcnt vmcnt(8)
	v_pk_mul_f32 v[2:3], v[2:3], v[76:77] op_sel_hi:[0,1]
	s_waitcnt vmcnt(7)
	v_pk_mul_f32 v[4:5], v[4:5], v[82:83] op_sel_hi:[0,1]
	v_pk_mul_f32 v[6:7], v[22:23], v[74:75] op_sel_hi:[0,1]
	;; [unrolled: 1-line block ×3, first 2 shown]
	s_waitcnt vmcnt(6)
	v_pk_mul_f32 v[22:23], v[26:27], v[78:79] op_sel_hi:[0,1]
	v_pk_fma_f32 v[26:27], v[16:17], v[76:77], v[2:3] op_sel:[0,0,1] op_sel_hi:[1,1,0] neg_lo:[0,0,1] neg_hi:[0,0,1]
	v_pk_fma_f32 v[2:3], v[16:17], v[76:77], v[2:3] op_sel:[0,0,1] op_sel_hi:[0,1,0]
	v_pk_fma_f32 v[16:17], v[24:25], v[82:83], v[4:5] op_sel:[0,0,1] op_sel_hi:[1,1,0] neg_lo:[0,0,1] neg_hi:[0,0,1]
	v_pk_fma_f32 v[4:5], v[24:25], v[82:83], v[4:5] op_sel:[0,0,1] op_sel_hi:[0,1,0]
	v_pk_fma_f32 v[24:25], v[48:49], v[74:75], v[6:7] op_sel:[0,0,1] op_sel_hi:[1,1,0]
	v_pk_fma_f32 v[6:7], v[50:51], v[74:75], v[6:7] op_sel:[0,0,1] op_sel_hi:[0,1,0] neg_lo:[1,0,0] neg_hi:[1,0,0]
	v_pk_fma_f32 v[48:49], v[52:53], v[80:81], v[18:19] op_sel:[0,0,1] op_sel_hi:[1,1,0]
	v_pk_fma_f32 v[18:19], v[54:55], v[80:81], v[18:19] op_sel:[0,0,1] op_sel_hi:[0,1,0] neg_lo:[1,0,0] neg_hi:[1,0,0]
	;; [unrolled: 2-line block ×3, first 2 shown]
	v_mov_b32_e32 v27, v3
	v_mov_b32_e32 v17, v5
	;; [unrolled: 1-line block ×5, first 2 shown]
	v_pk_add_f32 v[0:1], v[26:27], v[16:17]
	v_pk_add_f32 v[2:3], v[26:27], v[16:17] neg_lo:[0,1] neg_hi:[0,1]
	v_pk_add_f32 v[4:5], v[48:49], v[50:51]
	v_pk_add_f32 v[6:7], v[48:49], v[50:51] neg_lo:[0,1] neg_hi:[0,1]
	v_pk_add_f32 v[18:19], v[20:21], v[26:27]
	v_pk_fma_f32 v[20:21], v[0:1], 0.5, v[20:21] op_sel_hi:[1,0,1] neg_lo:[1,0,0] neg_hi:[1,0,0]
	v_pk_mul_f32 v[26:27], v[2:3], s[6:7] op_sel_hi:[1,0]
	v_pk_fma_f32 v[4:5], v[4:5], 0.5, v[24:25] op_sel_hi:[1,0,1] neg_lo:[1,0,0] neg_hi:[1,0,0]
	v_pk_mul_f32 v[6:7], v[6:7], s[6:7] op_sel_hi:[1,0]
	v_pk_add_f32 v[22:23], v[24:25], v[48:49]
	v_pk_add_f32 v[0:1], v[18:19], v[16:17]
	v_pk_add_f32 v[16:17], v[20:21], v[26:27] op_sel:[0,1] op_sel_hi:[1,0] neg_lo:[0,1] neg_hi:[0,1]
	v_pk_add_f32 v[18:19], v[20:21], v[26:27] op_sel:[0,1] op_sel_hi:[1,0]
	v_pk_add_f32 v[20:21], v[6:7], v[4:5] op_sel:[1,0] op_sel_hi:[0,1]
	v_pk_add_f32 v[4:5], v[4:5], v[6:7] op_sel:[0,1] op_sel_hi:[1,0] neg_lo:[0,1] neg_hi:[0,1]
	v_pk_add_f32 v[2:3], v[22:23], v[50:51]
	v_mov_b32_e32 v22, v20
	v_mov_b32_e32 v23, v5
	;; [unrolled: 1-line block ×5, first 2 shown]
	v_pk_mul_f32 v[16:17], v[20:21], s[16:17] op_sel:[1,0]
	v_pk_mul_f32 v[20:21], v[22:23], 0.5 op_sel_hi:[1,0]
	v_pk_fma_f32 v[24:25], v[4:5], s[18:19], v[16:17]
	v_pk_fma_f32 v[4:5], v[4:5], s[18:19], v[16:17] op_sel_hi:[0,1,1] neg_lo:[0,0,1] neg_hi:[0,0,1]
	v_pk_fma_f32 v[16:17], v[22:23], s[6:7], v[20:21] op_sel:[0,0,1] op_sel_hi:[1,1,0] neg_lo:[0,0,1] neg_hi:[0,0,1]
	v_mov_b32_e32 v25, v5
	v_pk_add_f32 v[4:5], v[6:7], v[16:17] neg_lo:[0,1] neg_hi:[0,1]
	v_pk_add_f32 v[54:55], v[6:7], v[16:17]
	v_accvgpr_write_b32 a17, v5
	v_accvgpr_write_b32 a16, v4
	v_mul_u32_u24_e32 v4, 0x66, v70
	v_add_u32_e32 v4, v4, v71
	v_add_lshl_u32 v68, v236, v4, 3
	s_waitcnt vmcnt(4)
	v_pk_mul_f32 v[4:5], v[64:65], v[12:13] op_sel:[0,1]
	v_pk_add_f32 v[52:53], v[18:19], v[24:25]
	v_pk_fma_f32 v[6:7], v[64:65], v[12:13], v[4:5] op_sel:[0,0,1] op_sel_hi:[1,1,0] neg_lo:[0,0,1] neg_hi:[0,0,1]
	v_pk_fma_f32 v[4:5], v[64:65], v[12:13], v[4:5] op_sel:[0,0,1] op_sel_hi:[1,0,0]
	v_pk_add_f32 v[50:51], v[18:19], v[24:25] neg_lo:[0,1] neg_hi:[0,1]
	v_mov_b32_e32 v4, v15
	v_mov_b32_e32 v7, v5
	v_pk_mul_f32 v[4:5], v[60:61], v[4:5] op_sel_hi:[1,0]
	v_accvgpr_write_b32 a6, v74
	v_pk_fma_f32 v[16:17], v[60:61], v[14:15], v[4:5] op_sel:[0,0,1] op_sel_hi:[1,1,0] neg_lo:[0,0,1] neg_hi:[0,0,1]
	v_pk_fma_f32 v[4:5], v[60:61], v[14:15], v[4:5] op_sel:[0,0,1] op_sel_hi:[1,0,0]
	v_accvgpr_write_b32 a12, v80
	v_mov_b32_e32 v17, v5
	v_pk_mul_f32 v[4:5], v[56:57], v[8:9] op_sel:[0,1]
	v_accvgpr_write_b32 a10, v78
	v_pk_fma_f32 v[18:19], v[56:57], v[8:9], v[4:5] op_sel:[0,0,1] op_sel_hi:[1,1,0] neg_lo:[0,0,1] neg_hi:[0,0,1]
	v_pk_fma_f32 v[4:5], v[56:57], v[8:9], v[4:5] op_sel:[0,0,1] op_sel_hi:[1,0,0]
	s_waitcnt vmcnt(3)
	v_accvgpr_write_b32 a22, v86
	v_mov_b32_e32 v4, v11
	v_mov_b32_e32 v19, v5
	v_pk_mul_f32 v[4:5], v[44:45], v[4:5] op_sel_hi:[1,0]
	v_pk_add_f32 v[24:25], v[6:7], v[18:19]
	v_pk_fma_f32 v[20:21], v[44:45], v[10:11], v[4:5] op_sel:[0,0,1] op_sel_hi:[1,1,0] neg_lo:[0,0,1] neg_hi:[0,0,1]
	v_pk_fma_f32 v[4:5], v[44:45], v[10:11], v[4:5] op_sel:[0,0,1] op_sel_hi:[1,0,0]
	s_waitcnt vmcnt(2)
	v_accvgpr_write_b32 a20, v84
	v_mov_b32_e32 v21, v5
	v_pk_mul_f32 v[4:5], v[40:41], v[86:87] op_sel:[0,1]
	v_accvgpr_write_b32 a7, v75
	v_pk_fma_f32 v[22:23], v[40:41], v[86:87], v[4:5] op_sel:[0,0,1] op_sel_hi:[1,1,0] neg_lo:[0,0,1] neg_hi:[0,0,1]
	v_pk_fma_f32 v[4:5], v[40:41], v[86:87], v[4:5] op_sel:[0,0,1] op_sel_hi:[1,0,0]
	v_pk_add_f32 v[40:41], v[16:17], v[20:21]
	v_mov_b32_e32 v23, v5
	v_pk_add_f32 v[4:5], v[28:29], v[16:17]
	v_pk_fma_f32 v[28:29], v[40:41], 0.5, v[28:29] op_sel_hi:[1,0,1] neg_lo:[1,0,0] neg_hi:[1,0,0]
	v_pk_add_f32 v[16:17], v[16:17], v[20:21] neg_lo:[0,1] neg_hi:[0,1]
	v_pk_add_f32 v[40:41], v[18:19], v[22:23]
	v_pk_mul_f32 v[16:17], v[16:17], s[6:7] op_sel_hi:[1,0]
	v_pk_fma_f32 v[6:7], v[40:41], 0.5, v[6:7] op_sel_hi:[1,0,1] neg_lo:[1,0,0] neg_hi:[1,0,0]
	v_pk_add_f32 v[18:19], v[18:19], v[22:23] neg_lo:[0,1] neg_hi:[0,1]
	v_pk_add_f32 v[4:5], v[4:5], v[20:21]
	v_pk_add_f32 v[24:25], v[24:25], v[22:23]
	v_pk_add_f32 v[20:21], v[16:17], v[28:29] op_sel:[1,0] op_sel_hi:[0,1]
	v_pk_fma_f32 v[22:23], v[18:19], s[6:7], v[6:7] op_sel:[0,0,1] op_sel_hi:[1,0,0]
	v_pk_fma_f32 v[6:7], v[18:19], s[6:7], v[6:7] op_sel:[0,0,1] op_sel_hi:[1,0,0] neg_lo:[1,0,0] neg_hi:[1,0,0]
	v_pk_add_f32 v[16:17], v[28:29], v[16:17] op_sel:[0,1] op_sel_hi:[1,0] neg_lo:[0,1] neg_hi:[0,1]
	v_mov_b32_e32 v29, v21
	v_mov_b32_e32 v18, v22
	;; [unrolled: 1-line block ×3, first 2 shown]
	v_mul_f32_e32 v21, 0xbf5db3d7, v23
	v_mov_b32_e32 v28, v16
	v_mul_f32_e32 v16, 0x3f5db3d7, v6
	v_fmac_f32_e32 v21, 0.5, v6
	v_pk_mul_f32 v[6:7], v[18:19], 0.5 op_sel_hi:[1,0]
	v_pk_add_f32 v[26:27], v[4:5], v[24:25]
	v_pk_fma_f32 v[6:7], v[18:19], s[6:7], v[6:7] op_sel:[0,0,1] op_sel_hi:[1,1,0] neg_lo:[0,0,1] neg_hi:[0,0,1]
	v_fmac_f32_e32 v16, 0.5, v23
	v_pk_add_f32 v[18:19], v[28:29], v[6:7]
	v_pk_add_f32 v[4:5], v[4:5], v[24:25] neg_lo:[0,1] neg_hi:[0,1]
	v_add_f32_e32 v22, v20, v16
	v_add_f32_e32 v23, v17, v21
	v_sub_f32_e32 v16, v20, v16
	v_sub_f32_e32 v17, v17, v21
	ds_write2_b64 v68, v[18:19], v[4:5] offset0:34 offset1:51
	v_pk_add_f32 v[4:5], v[28:29], v[6:7] neg_lo:[0,1] neg_hi:[0,1]
	ds_write2_b64 v68, v[16:17], v[4:5] offset0:68 offset1:85
	v_mul_u32_u24_e32 v4, 0x66, v72
	v_add_u32_e32 v4, v4, v73
	v_add_lshl_u32 v40, v236, v4, 3
	s_waitcnt vmcnt(0)
	v_pk_mul_f32 v[4:5], v[66:67], v[36:37] op_sel:[0,1]
	ds_write2_b64 v68, v[26:27], v[22:23] offset1:17
	v_pk_fma_f32 v[6:7], v[66:67], v[36:37], v[4:5] op_sel:[0,0,1] op_sel_hi:[1,1,0] neg_lo:[0,0,1] neg_hi:[0,0,1]
	v_pk_fma_f32 v[4:5], v[66:67], v[36:37], v[4:5] op_sel:[0,0,1] op_sel_hi:[1,0,0]
	v_accvgpr_write_b32 a8, v76
	v_mov_b32_e32 v4, v39
	v_mov_b32_e32 v7, v5
	v_pk_mul_f32 v[4:5], v[62:63], v[4:5] op_sel_hi:[1,0]
	v_accvgpr_write_b32 a9, v77
	v_pk_fma_f32 v[16:17], v[62:63], v[38:39], v[4:5] op_sel:[0,0,1] op_sel_hi:[1,1,0] neg_lo:[0,0,1] neg_hi:[0,0,1]
	v_pk_fma_f32 v[4:5], v[62:63], v[38:39], v[4:5] op_sel:[0,0,1] op_sel_hi:[1,0,0]
	v_accvgpr_write_b32 a13, v81
	v_mov_b32_e32 v17, v5
	v_pk_mul_f32 v[4:5], v[58:59], v[32:33] op_sel:[0,1]
	v_accvgpr_write_b32 a14, v82
	v_pk_fma_f32 v[18:19], v[58:59], v[32:33], v[4:5] op_sel:[0,0,1] op_sel_hi:[1,1,0] neg_lo:[0,0,1] neg_hi:[0,0,1]
	v_pk_fma_f32 v[4:5], v[58:59], v[32:33], v[4:5] op_sel:[0,0,1] op_sel_hi:[1,0,0]
	v_accvgpr_write_b32 a15, v83
	v_mov_b32_e32 v4, v35
	v_mov_b32_e32 v19, v5
	v_pk_mul_f32 v[4:5], v[46:47], v[4:5] op_sel_hi:[1,0]
	v_pk_add_f32 v[24:25], v[6:7], v[18:19]
	v_pk_fma_f32 v[20:21], v[46:47], v[34:35], v[4:5] op_sel:[0,0,1] op_sel_hi:[1,1,0] neg_lo:[0,0,1] neg_hi:[0,0,1]
	v_pk_fma_f32 v[4:5], v[46:47], v[34:35], v[4:5] op_sel:[0,0,1] op_sel_hi:[1,0,0]
	v_accvgpr_write_b32 a11, v79
	v_mov_b32_e32 v21, v5
	v_pk_mul_f32 v[4:5], v[42:43], v[84:85] op_sel:[0,1]
	v_pk_add_f32 v[28:29], v[16:17], v[20:21]
	v_pk_fma_f32 v[22:23], v[42:43], v[84:85], v[4:5] op_sel:[0,0,1] op_sel_hi:[1,1,0] neg_lo:[0,0,1] neg_hi:[0,0,1]
	v_pk_fma_f32 v[4:5], v[42:43], v[84:85], v[4:5] op_sel:[0,0,1] op_sel_hi:[1,0,0]
	v_pk_fma_f32 v[28:29], v[28:29], 0.5, v[30:31] op_sel_hi:[1,0,1] neg_lo:[1,0,0] neg_hi:[1,0,0]
	v_mov_b32_e32 v23, v5
	v_pk_add_f32 v[4:5], v[30:31], v[16:17]
	v_pk_add_f32 v[16:17], v[16:17], v[20:21] neg_lo:[0,1] neg_hi:[0,1]
	v_pk_add_f32 v[30:31], v[18:19], v[22:23]
	v_pk_mul_f32 v[16:17], v[16:17], s[6:7] op_sel_hi:[1,0]
	v_pk_fma_f32 v[6:7], v[30:31], 0.5, v[6:7] op_sel_hi:[1,0,1] neg_lo:[1,0,0] neg_hi:[1,0,0]
	v_pk_add_f32 v[18:19], v[18:19], v[22:23] neg_lo:[0,1] neg_hi:[0,1]
	v_pk_add_f32 v[4:5], v[4:5], v[20:21]
	v_pk_add_f32 v[24:25], v[24:25], v[22:23]
	v_pk_add_f32 v[20:21], v[16:17], v[28:29] op_sel:[1,0] op_sel_hi:[0,1]
	v_pk_fma_f32 v[22:23], v[18:19], s[6:7], v[6:7] op_sel:[0,0,1] op_sel_hi:[1,0,0]
	v_pk_fma_f32 v[6:7], v[18:19], s[6:7], v[6:7] op_sel:[0,0,1] op_sel_hi:[1,0,0] neg_lo:[1,0,0] neg_hi:[1,0,0]
	v_pk_add_f32 v[16:17], v[28:29], v[16:17] op_sel:[0,1] op_sel_hi:[1,0] neg_lo:[0,1] neg_hi:[0,1]
	v_mov_b32_e32 v29, v21
	v_mov_b32_e32 v18, v22
	;; [unrolled: 1-line block ×3, first 2 shown]
	v_mul_f32_e32 v21, 0xbf5db3d7, v23
	v_mov_b32_e32 v28, v16
	v_mul_f32_e32 v16, 0x3f5db3d7, v6
	v_fmac_f32_e32 v21, 0.5, v6
	v_pk_mul_f32 v[6:7], v[18:19], 0.5 op_sel_hi:[1,0]
	v_pk_add_f32 v[26:27], v[4:5], v[24:25]
	v_pk_fma_f32 v[6:7], v[18:19], s[6:7], v[6:7] op_sel:[0,0,1] op_sel_hi:[1,1,0] neg_lo:[0,0,1] neg_hi:[0,0,1]
	v_fmac_f32_e32 v16, 0.5, v23
	v_pk_add_f32 v[18:19], v[28:29], v[6:7]
	v_pk_add_f32 v[4:5], v[4:5], v[24:25] neg_lo:[0,1] neg_hi:[0,1]
	v_pk_add_f32 v[48:49], v[0:1], v[2:3] op_sel:[0,1] op_sel_hi:[1,0] neg_lo:[0,1] neg_hi:[0,1]
	v_accvgpr_write_b32 a23, v87
	v_accvgpr_write_b32 a18, v68
	;; [unrolled: 1-line block ×3, first 2 shown]
	v_add_f32_e32 v22, v20, v16
	v_add_f32_e32 v23, v17, v21
	v_sub_f32_e32 v16, v20, v16
	v_sub_f32_e32 v17, v17, v21
	ds_write2_b64 v40, v[18:19], v[4:5] offset0:34 offset1:51
	v_pk_add_f32 v[4:5], v[28:29], v[6:7] neg_lo:[0,1] neg_hi:[0,1]
	v_accvgpr_write_b32 a19, v40
	ds_write2_b64 v40, v[26:27], v[22:23] offset1:17
	ds_write2_b64 v40, v[16:17], v[4:5] offset0:68 offset1:85
	s_and_saveexec_b64 s[6:7], s[2:3]
	s_cbranch_execz .LBB0_11
; %bb.10:
	v_mov_b32_e32 v5, v2
	v_accvgpr_read_b32 v2, a3
	v_mov_b32_e32 v4, v3
	v_add_lshl_u32 v2, v236, v2, 3
	v_pk_add_f32 v[0:1], v[0:1], v[4:5]
	v_add_u32_e32 v3, 0x2000, v2
	ds_write2_b64 v3, v[0:1], v[52:53] offset0:200 offset1:217
	ds_write2_b64 v3, v[54:55], v[48:49] offset0:234 offset1:251
	v_add_u32_e32 v0, 0x2800, v2
	v_accvgpr_read_b32 v2, a16
	v_accvgpr_read_b32 v3, a17
	ds_write2_b64 v0, v[50:51], v[2:3] offset0:12 offset1:29
.LBB0_11:
	s_or_b64 exec, exec, s[6:7]
	s_movk_i32 s6, 0x60
	v_mov_b64_e32 v[0:1], s[0:1]
	v_accvgpr_read_b32 v188, a4
	v_mad_u64_u32 v[0:1], s[0:1], v188, s6, v[0:1]
	s_waitcnt lgkmcnt(0)
	s_barrier
	global_load_dwordx4 v[20:23], v[0:1], off offset:680
	global_load_dwordx4 v[16:19], v[0:1], off offset:696
	global_load_dwordx4 v[28:31], v[0:1], off offset:712
	global_load_dwordx4 v[24:27], v[0:1], off offset:728
	global_load_dwordx4 v[44:47], v[0:1], off offset:744
	global_load_dwordx4 v[40:43], v[0:1], off offset:760
	v_add_u32_e32 v0, 0x400, v164
	ds_read2_b64 v[56:59], v164 offset1:102
	v_add_u32_e32 v4, 0x800, v164
	v_add_u32_e32 v5, 0x1000, v164
	;; [unrolled: 1-line block ×4, first 2 shown]
	ds_read2_b64 v[0:3], v0 offset0:76 offset1:178
	ds_read2_b64 v[60:63], v4 offset0:152 offset1:254
	;; [unrolled: 1-line block ×5, first 2 shown]
	s_mov_b32 s0, 0xbf29c268
	s_mov_b32 s22, 0xbf3f9e67
	;; [unrolled: 1-line block ×24, first 2 shown]
	s_waitcnt vmcnt(5)
	v_mov_b32_e32 v4, v21
	s_waitcnt lgkmcnt(5)
	v_pk_mul_f32 v[6:7], v[58:59], v[20:21] op_sel:[1,0] op_sel_hi:[0,1]
	s_waitcnt lgkmcnt(4)
	v_pk_mul_f32 v[78:79], v[0:1], v[22:23] op_sel:[1,0] op_sel_hi:[0,1]
	v_pk_mul_f32 v[4:5], v[58:59], v[4:5] op_sel:[1,0] op_sel_hi:[0,1]
	s_waitcnt vmcnt(1) lgkmcnt(1)
	v_pk_mul_f32 v[98:99], v[70:71], v[44:45] op_sel:[1,0] op_sel_hi:[0,1]
	s_waitcnt lgkmcnt(0)
	v_pk_mul_f32 v[102:103], v[72:73], v[46:47] op_sel:[1,0] op_sel_hi:[0,1]
	s_waitcnt vmcnt(0)
	v_mov_b32_e32 v104, v41
	v_mov_b32_e32 v106, v6
	;; [unrolled: 1-line block ×7, first 2 shown]
	v_pk_fma_f32 v[6:7], v[58:59], v[20:21], v[4:5] neg_lo:[0,0,1] neg_hi:[0,0,1]
	v_pk_mul_f32 v[58:59], v[74:75], v[104:105] op_sel:[1,0] op_sel_hi:[0,1]
	v_mov_b32_e32 v84, v19
	v_pk_add_f32 v[116:117], v[116:117], v[102:103]
	v_pk_fma_f32 v[102:103], v[74:75], v[40:41], v[58:59] neg_lo:[0,0,1] neg_hi:[0,0,1]
	ds_read_b64 v[58:59], v164 offset:9792
	v_pk_mul_f32 v[84:85], v[60:61], v[84:85] op_sel:[1,0] op_sel_hi:[0,1]
	v_pk_mul_f32 v[86:87], v[60:61], v[18:19] op_sel:[1,0] op_sel_hi:[0,1]
	v_pk_fma_f32 v[120:121], v[60:61], v[18:19], v[84:85] neg_lo:[0,0,1] neg_hi:[0,0,1]
	v_pk_mul_f32 v[60:61], v[74:75], v[40:41] op_sel:[1,0] op_sel_hi:[0,1]
	v_mov_b32_e32 v60, v61
	v_pk_mul_f32 v[82:83], v[2:3], v[16:17] op_sel:[1,0] op_sel_hi:[0,1]
	v_pk_mul_f32 v[94:95], v[66:67], v[24:25] op_sel:[1,0] op_sel_hi:[0,1]
	v_pk_fma_f32 v[104:105], v[74:75], v[40:41], v[60:61] op_sel:[1,0,0] op_sel_hi:[0,1,1]
	v_mov_b32_e32 v60, v43
	v_mov_b32_e32 v88, v29
	v_pk_mul_f32 v[90:91], v[62:63], v[28:29] op_sel:[1,0] op_sel_hi:[0,1]
	v_mov_b32_e32 v94, v27
	v_pk_mul_f32 v[96:97], v[68:69], v[26:27] op_sel:[1,0] op_sel_hi:[0,1]
	v_mov_b32_e32 v108, v82
	v_mov_b32_e32 v109, v86
	v_mov_b32_e32 v86, v83
	s_waitcnt lgkmcnt(0)
	v_pk_mul_f32 v[60:61], v[58:59], v[60:61] op_sel:[1,0] op_sel_hi:[0,1]
	v_pk_mul_f32 v[82:83], v[62:63], v[88:89] op_sel:[1,0] op_sel_hi:[0,1]
	v_mov_b32_e32 v88, v91
	v_mov_b32_e32 v112, v95
	v_pk_mul_f32 v[94:95], v[68:69], v[94:95] op_sel:[1,0] op_sel_hi:[0,1]
	v_mov_b32_e32 v114, v97
	v_pk_add_f32 v[122:123], v[108:109], v[86:87]
	v_pk_fma_f32 v[108:109], v[58:59], v[42:43], v[60:61] neg_lo:[0,0,1] neg_hi:[0,0,1]
	v_pk_mul_f32 v[60:61], v[58:59], v[42:43] op_sel:[1,0] op_sel_hi:[0,1]
	v_pk_mul_f32 v[92:93], v[64:65], v[30:31] op_sel:[1,0] op_sel_hi:[0,1]
	v_pk_add_f32 v[4:5], v[106:107], v[78:79]
	v_pk_fma_f32 v[82:83], v[62:63], v[28:29], v[82:83] neg_lo:[0,0,1] neg_hi:[0,0,1]
	v_pk_fma_f32 v[84:85], v[62:63], v[28:29], v[88:89] op_sel:[1,0,0] op_sel_hi:[0,1,1]
	v_pk_fma_f32 v[98:99], v[66:67], v[24:25], v[112:113] op_sel:[1,0,0] op_sel_hi:[0,1,1]
	v_pk_fma_f32 v[106:107], v[68:69], v[26:27], v[94:95] neg_lo:[0,0,1] neg_hi:[0,0,1]
	v_pk_fma_f32 v[112:113], v[68:69], v[26:27], v[114:115] op_sel:[1,0,0] op_sel_hi:[0,1,1]
	v_mov_b32_e32 v60, v61
	v_mov_b32_e32 v90, v31
	;; [unrolled: 1-line block ×4, first 2 shown]
	v_pk_fma_f32 v[94:95], v[58:59], v[42:43], v[60:61] op_sel:[1,0,0] op_sel_hi:[0,1,1]
	v_mov_b32_e32 v58, v82
	v_mov_b32_e32 v59, v84
	;; [unrolled: 1-line block ×4, first 2 shown]
	v_pk_mul_f32 v[90:91], v[64:65], v[90:91] op_sel:[1,0] op_sel_hi:[0,1]
	v_pk_mul_f32 v[92:93], v[66:67], v[92:93] op_sel:[1,0] op_sel_hi:[0,1]
	v_pk_fma_f32 v[88:89], v[64:65], v[30:31], v[110:111] op_sel:[1,0,0] op_sel_hi:[0,1,1]
	v_pk_add_f32 v[110:111], v[58:59], v[60:61] neg_lo:[0,1] neg_hi:[0,1]
	v_pk_fma_f32 v[86:87], v[64:65], v[30:31], v[90:91] neg_lo:[0,0,1] neg_hi:[0,0,1]
	v_pk_fma_f32 v[90:91], v[66:67], v[24:25], v[92:93] neg_lo:[0,0,1] neg_hi:[0,0,1]
	v_pk_add_f32 v[92:93], v[58:59], v[60:61]
	v_pk_mul_f32 v[58:59], v[110:111], s[0:1] op_sel:[1,0] op_sel_hi:[0,0]
	v_pk_fma_f32 v[126:127], v[92:93], s[22:23], v[58:59] op_sel_hi:[1,0,1]
	v_mov_b32_e32 v76, v23
	v_mov_b32_e32 v64, v126
	;; [unrolled: 1-line block ×4, first 2 shown]
	v_pk_mul_f32 v[76:77], v[0:1], v[76:77] op_sel:[1,0] op_sel_hi:[0,1]
	v_pk_add_f32 v[136:137], v[126:127], v[4:5]
	v_mov_b32_e32 v126, v5
	v_pk_mul_f32 v[80:81], v[2:3], v[80:81] op_sel:[1,0] op_sel_hi:[0,1]
	v_pk_fma_f32 v[0:1], v[0:1], v[22:23], v[76:77] neg_lo:[0,0,1] neg_hi:[0,0,1]
	v_pk_add_f32 v[118:119], v[56:57], v[6:7]
	v_pk_add_f32 v[136:137], v[136:137], v[126:127]
	v_pk_fma_f32 v[2:3], v[2:3], v[16:17], v[80:81] neg_lo:[0,0,1] neg_hi:[0,0,1]
	v_pk_add_f32 v[118:119], v[118:119], v[0:1]
	v_pk_add_f32 v[136:137], v[136:137], v[122:123]
	v_mov_b32_e32 v126, v123
	v_pk_add_f32 v[118:119], v[118:119], v[2:3]
	v_pk_add_f32 v[136:137], v[136:137], v[126:127]
	v_pk_fma_f32 v[62:63], v[92:93], s[22:23], v[58:59] op_sel_hi:[1,0,1] neg_lo:[0,0,1] neg_hi:[0,0,1]
	v_pk_mul_f32 v[58:59], v[110:111], s[16:17] op_sel:[1,0] op_sel_hi:[0,0]
	v_pk_add_f32 v[118:119], v[118:119], v[120:121]
	v_pk_add_f32 v[84:85], v[136:137], v[84:85]
	v_pk_fma_f32 v[128:129], v[92:93], s[6:7], v[58:59] op_sel_hi:[1,0,1]
	v_pk_fma_f32 v[66:67], v[92:93], s[6:7], v[58:59] op_sel_hi:[1,0,1] neg_lo:[0,0,1] neg_hi:[0,0,1]
	v_mov_b32_e32 v58, v86
	v_mov_b32_e32 v59, v88
	;; [unrolled: 1-line block ×4, first 2 shown]
	v_pk_add_f32 v[82:83], v[118:119], v[82:83]
	v_pk_add_f32 v[84:85], v[84:85], v[88:89]
	v_mov_b32_e32 v96, v45
	v_pk_add_f32 v[80:81], v[58:59], v[60:61] neg_lo:[0,1] neg_hi:[0,1]
	v_pk_add_f32 v[82:83], v[82:83], v[86:87]
	v_pk_add_f32 v[84:85], v[84:85], v[98:99]
	v_mov_b32_e32 v100, v47
	v_pk_mul_f32 v[96:97], v[70:71], v[96:97] op_sel:[1,0] op_sel_hi:[0,1]
	v_pk_add_f32 v[74:75], v[58:59], v[60:61]
	v_pk_mul_f32 v[58:59], v[80:81], s[18:19] op_sel:[1,0] op_sel_hi:[0,0]
	v_pk_add_f32 v[82:83], v[82:83], v[90:91]
	v_pk_add_f32 v[84:85], v[84:85], v[112:113]
	v_pk_mul_f32 v[100:101], v[72:73], v[100:101] op_sel:[1,0] op_sel_hi:[0,1]
	v_pk_fma_f32 v[124:125], v[70:71], v[44:45], v[96:97] neg_lo:[0,0,1] neg_hi:[0,0,1]
	v_pk_fma_f32 v[130:131], v[74:75], s[24:25], v[58:59] op_sel_hi:[1,0,1]
	v_pk_fma_f32 v[58:59], v[74:75], s[24:25], v[58:59] op_sel_hi:[1,0,1] neg_lo:[0,0,1] neg_hi:[0,0,1]
	v_pk_add_f32 v[82:83], v[82:83], v[106:107]
	v_pk_add_f32 v[84:85], v[84:85], v[116:117]
	v_pk_fma_f32 v[100:101], v[72:73], v[46:47], v[100:101] neg_lo:[0,0,1] neg_hi:[0,0,1]
	v_mov_b32_e32 v61, v59
	v_pk_add_f32 v[82:83], v[82:83], v[124:125]
	v_mov_b32_e32 v59, v84
	v_pk_add_f32 v[82:83], v[82:83], v[100:101]
	v_pk_add_f32 v[84:85], v[58:59], v[116:117]
	v_mov_b32_e32 v96, v102
	v_mov_b32_e32 v97, v104
	;; [unrolled: 1-line block ×3, first 2 shown]
	v_pk_add_f32 v[88:89], v[0:1], v[102:103]
	v_pk_add_f32 v[0:1], v[0:1], v[102:103] neg_lo:[0,1] neg_hi:[0,1]
	v_mov_b32_e32 v114, v108
	v_mov_b32_e32 v115, v94
	v_pk_add_f32 v[82:83], v[82:83], v[96:97]
	v_mov_b32_e32 v89, v0
	s_mov_b32 s7, s16
	v_pk_add_f32 v[112:113], v[2:3], v[100:101]
	v_pk_add_f32 v[2:3], v[2:3], v[100:101] neg_lo:[0,1] neg_hi:[0,1]
	v_pk_add_f32 v[96:97], v[82:83], v[114:115]
	v_pk_mul_f32 v[106:107], v[88:89], s[6:7]
	v_mov_b32_e32 v113, v2
	v_pk_add_f32 v[114:115], v[122:123], v[116:117] op_sel:[0,1] neg_lo:[0,1] neg_hi:[0,1]
	v_pk_add_f32 v[100:101], v[122:123], v[116:117] op_sel_hi:[0,1]
	s_mov_b32 s7, s36
	v_mov_b32_e32 v100, v114
	v_pk_mul_f32 v[82:83], v[112:113], s[6:7]
	s_mov_b32 s25, s18
	v_pk_fma_f32 v[142:143], v[114:115], s[36:37], v[82:83] neg_lo:[1,0,0] neg_hi:[1,0,0]
	v_pk_fma_f32 v[2:3], v[100:101], s[36:37], v[82:83]
	v_pk_fma_f32 v[82:83], v[100:101], s[36:37], v[82:83] neg_lo:[0,0,1] neg_hi:[0,0,1]
	v_pk_mul_f32 v[68:69], v[80:81], s[20:21] op_sel:[1,0] op_sel_hi:[0,0]
	v_pk_mul_f32 v[72:73], v[80:81], s[0:1] op_sel:[1,0] op_sel_hi:[0,0]
	s_mov_b32 s19, s24
	v_mov_b32_e32 v143, v3
	v_mov_b32_e32 v3, v83
	v_pk_mul_f32 v[82:83], v[112:113], s[24:25]
	v_pk_add_f32 v[118:119], v[120:121], v[124:125]
	v_pk_add_f32 v[124:125], v[120:121], v[124:125] neg_lo:[0,1] neg_hi:[0,1]
	v_mov_b32_e32 v60, v130
	v_pk_fma_f32 v[132:133], v[74:75], s[28:29], v[68:69] op_sel_hi:[1,0,1]
	v_pk_fma_f32 v[68:69], v[74:75], s[28:29], v[68:69] op_sel_hi:[1,0,1] neg_lo:[0,0,1] neg_hi:[0,0,1]
	v_pk_fma_f32 v[134:135], v[74:75], s[22:23], v[72:73] op_sel_hi:[1,0,1]
	v_pk_fma_f32 v[72:73], v[74:75], s[22:23], v[72:73] op_sel_hi:[1,0,1] neg_lo:[0,0,1] neg_hi:[0,0,1]
	s_mov_b32 s23, s34
	v_pk_fma_f32 v[144:145], v[114:115], s[18:19], v[82:83] neg_lo:[1,0,0] neg_hi:[1,0,0]
	v_pk_fma_f32 v[84:85], v[100:101], s[18:19], v[82:83]
	v_pk_fma_f32 v[146:147], v[100:101], s[18:19], v[82:83] neg_lo:[0,0,1] neg_hi:[0,0,1]
	v_mov_b32_e32 v119, v124
	v_pk_add_f32 v[120:121], v[122:123], v[116:117] op_sel:[1,0] neg_lo:[0,1] neg_hi:[0,1]
	v_pk_add_f32 v[82:83], v[122:123], v[116:117] op_sel_hi:[1,0]
	v_mov_b32_e32 v59, v131
	v_pk_mul_f32 v[130:131], v[80:81], s[40:41] op_sel:[1,0] op_sel_hi:[0,0]
	v_mov_b32_e32 v65, v63
	v_mov_b32_e32 v70, v132
	;; [unrolled: 1-line block ×3, first 2 shown]
	s_mov_b32 s29, s20
	v_mov_b32_e32 v82, v120
	v_pk_mul_f32 v[122:123], v[118:119], s[22:23]
	v_mov_b32_e32 v63, v127
	v_pk_mul_f32 v[126:127], v[110:111], s[26:27] op_sel:[1,0] op_sel_hi:[0,0]
	v_mov_b32_e32 v69, v133
	v_pk_fma_f32 v[132:133], v[74:75], s[48:49], v[130:131] op_sel_hi:[1,0,1] neg_lo:[0,0,1] neg_hi:[0,0,1]
	v_pk_fma_f32 v[130:131], v[74:75], s[48:49], v[130:131] op_sel_hi:[1,0,1]
	v_mov_b32_e32 v78, v128
	v_mov_b32_e32 v79, v67
	;; [unrolled: 1-line block ×4, first 2 shown]
	s_mov_b32 s21, s28
	v_pk_fma_f32 v[148:149], v[120:121], s[34:35], v[122:123] neg_lo:[1,0,0] neg_hi:[1,0,0]
	v_pk_fma_f32 v[116:117], v[82:83], s[34:35], v[122:123]
	v_pk_fma_f32 v[150:151], v[82:83], s[34:35], v[122:123] neg_lo:[0,0,1] neg_hi:[0,0,1]
	v_pk_mul_f32 v[152:153], v[118:119], s[28:29]
	v_mov_b32_e32 v156, v120
	v_mov_b32_e32 v157, v124
	;; [unrolled: 1-line block ×3, first 2 shown]
	v_pk_fma_f32 v[128:129], v[92:93], s[48:49], v[126:127] op_sel_hi:[1,0,1] neg_lo:[0,0,1] neg_hi:[0,0,1]
	v_pk_fma_f32 v[126:127], v[92:93], s[48:49], v[126:127] op_sel_hi:[1,0,1]
	v_mov_b32_e32 v73, v135
	v_mov_b32_e32 v134, v132
	;; [unrolled: 1-line block ×4, first 2 shown]
	v_pk_mul_f32 v[132:133], v[80:81], s[44:45] op_sel:[1,0] op_sel_hi:[0,0]
	v_mov_b32_e32 v145, v85
	v_mov_b32_e32 v149, v117
	v_pk_fma_f32 v[154:155], v[120:121], s[20:21], v[152:153] neg_lo:[1,0,0] neg_hi:[1,0,0]
	v_pk_fma_f32 v[122:123], v[82:83], s[20:21], v[152:153]
	v_pk_fma_f32 v[152:153], v[82:83], s[20:21], v[152:153] neg_lo:[0,0,1] neg_hi:[0,0,1]
	v_mov_b32_e32 v85, v147
	v_mov_b32_e32 v146, v118
	;; [unrolled: 1-line block ×3, first 2 shown]
	v_pk_mul_f32 v[124:125], v[156:157], s[44:45] op_sel_hi:[1,0]
	v_mov_b32_e32 v117, v151
	v_mov_b32_e32 v150, v128
	;; [unrolled: 1-line block ×4, first 2 shown]
	v_pk_mul_f32 v[128:129], v[110:111], s[38:39] op_sel:[1,0] op_sel_hi:[0,0]
	v_pk_fma_f32 v[160:161], v[74:75], s[46:47], v[132:133] op_sel_hi:[1,0,1] neg_lo:[0,0,1] neg_hi:[0,0,1]
	v_pk_fma_f32 v[132:133], v[74:75], s[46:47], v[132:133] op_sel_hi:[1,0,1]
	v_mov_b32_e32 v155, v123
	v_pk_fma_f32 v[156:157], v[146:147], s[46:47], v[124:125] op_sel_hi:[1,0,1] neg_lo:[0,0,1] neg_hi:[0,0,1]
	v_pk_fma_f32 v[124:125], v[146:147], s[46:47], v[124:125] op_sel_hi:[1,0,1]
	v_mov_b32_e32 v123, v153
	;; [unrolled: 3-line block ×3, first 2 shown]
	v_mov_b32_e32 v163, v133
	v_mov_b32_e32 v133, v161
	v_pk_add_f32 v[160:161], v[6:7], v[108:109]
	v_pk_add_f32 v[6:7], v[6:7], v[108:109] neg_lo:[0,1] neg_hi:[0,1]
	v_pk_add_f32 v[90:91], v[4:5], v[104:105] op_sel:[1,0] neg_lo:[0,1] neg_hi:[0,1]
	v_pk_add_f32 v[98:99], v[4:5], v[104:105] op_sel_hi:[1,0]
	v_mov_b32_e32 v146, v156
	v_mov_b32_e32 v147, v125
	;; [unrolled: 1-line block ×6, first 2 shown]
	v_pk_mul_f32 v[152:153], v[110:111], s[20:21] op_sel:[1,0] op_sel_hi:[0,0]
	v_mov_b32_e32 v161, v6
	v_pk_add_f32 v[6:7], v[4:5], v[94:95] neg_lo:[0,1] neg_hi:[0,1]
	v_pk_add_f32 v[4:5], v[4:5], v[94:95]
	v_pk_mul_f32 v[110:111], v[110:111], s[44:45] op_sel:[1,0] op_sel_hi:[0,0]
	v_pk_fma_f32 v[158:159], v[92:93], s[28:29], v[152:153] op_sel_hi:[1,0,1] neg_lo:[0,0,1] neg_hi:[0,0,1]
	v_pk_fma_f32 v[152:153], v[92:93], s[28:29], v[152:153] op_sel_hi:[1,0,1]
	v_mov_b32_e32 v94, v6
	v_mov_b32_e32 v95, v4
	v_pk_fma_f32 v[168:169], v[92:93], s[46:47], v[110:111] op_sel_hi:[1,0,1] neg_lo:[0,0,1] neg_hi:[0,0,1]
	v_pk_fma_f32 v[92:93], v[92:93], s[46:47], v[110:111] op_sel_hi:[1,0,1]
	s_mov_b32 s46, 0xbeedf032
	s_mov_b32 s47, s28
	v_pk_mul_f32 v[110:111], v[94:95], s[46:47]
	s_mov_b32 s48, s28
	s_mov_b32 s49, s46
	v_mov_b32_e32 v98, v90
	v_pk_mul_f32 v[0:1], v[88:89], s[30:31]
	v_pk_fma_f32 v[170:171], v[160:161], s[48:49], v[110:111]
	v_pk_fma_f32 v[172:173], v[160:161], s[48:49], v[110:111] neg_lo:[1,0,0] neg_hi:[1,0,0]
	v_pk_fma_f32 v[110:111], v[160:161], s[48:49], v[110:111] neg_lo:[0,0,1] neg_hi:[0,0,1]
	;; [unrolled: 1-line block ×3, first 2 shown]
	v_pk_fma_f32 v[104:105], v[98:99], s[26:27], v[0:1]
	v_mov_b32_e32 v111, v171
	v_mov_b32_e32 v137, v105
	v_pk_add_f32 v[110:111], v[56:57], v[110:111]
	s_mov_b32 s46, s43
	s_mov_b32 s47, s44
	;; [unrolled: 1-line block ×3, first 2 shown]
	v_pk_add_f32 v[110:111], v[136:137], v[110:111]
	v_pk_mul_f32 v[136:137], v[88:89], s[46:47]
	v_mov_b32_e32 v172, v170
	v_pk_fma_f32 v[176:177], v[90:91], s[44:45], v[136:137] neg_lo:[1,0,0] neg_hi:[1,0,0]
	v_pk_fma_f32 v[178:179], v[98:99], s[44:45], v[136:137]
	v_pk_fma_f32 v[136:137], v[98:99], s[44:45], v[136:137] neg_lo:[0,0,1] neg_hi:[0,0,1]
	v_mov_b32_e32 v177, v179
	v_mov_b32_e32 v179, v137
	v_pk_mul_f32 v[136:137], v[160:161], s[30:31]
	v_pk_mul_f32 v[170:171], v[160:161], s[46:47]
	v_pk_fma_f32 v[180:181], v[6:7], s[26:27], v[136:137] neg_lo:[1,0,0] neg_hi:[1,0,0]
	v_pk_fma_f32 v[182:183], v[94:95], s[26:27], v[136:137]
	v_pk_fma_f32 v[136:137], v[94:95], s[26:27], v[136:137] neg_lo:[0,0,1] neg_hi:[0,0,1]
	v_pk_fma_f32 v[0:1], v[98:99], s[26:27], v[0:1] neg_lo:[0,0,1] neg_hi:[0,0,1]
	v_pk_mul_f32 v[86:87], v[88:89], s[22:23]
	v_pk_fma_f32 v[174:175], v[6:7], s[44:45], v[170:171] neg_lo:[1,0,0] neg_hi:[1,0,0]
	v_mov_b32_e32 v136, v182
	v_mov_b32_e32 v181, v183
	v_pk_fma_f32 v[182:183], v[94:95], s[44:45], v[170:171]
	v_mov_b32_e32 v105, v1
	v_pk_fma_f32 v[138:139], v[90:91], s[34:35], v[86:87] neg_lo:[1,0,0] neg_hi:[1,0,0]
	v_pk_fma_f32 v[0:1], v[98:99], s[34:35], v[86:87]
	v_mov_b32_e32 v175, v183
	s_mov_b32 s23, s0
	v_pk_add_f32 v[180:181], v[56:57], v[180:181]
	v_mov_b32_e32 v139, v1
	v_pk_add_f32 v[174:175], v[56:57], v[174:175]
	s_mov_b32 s1, s22
	v_pk_add_f32 v[176:177], v[176:177], v[180:181]
	v_pk_mul_f32 v[180:181], v[160:161], s[22:23]
	v_pk_add_f32 v[136:137], v[56:57], v[136:137]
	s_mov_b32 s17, s6
	v_pk_add_f32 v[136:137], v[178:179], v[136:137]
	v_pk_fma_f32 v[178:179], v[6:7], s[0:1], v[180:181] neg_lo:[1,0,0] neg_hi:[1,0,0]
	v_pk_add_f32 v[138:139], v[138:139], v[174:175]
	v_pk_fma_f32 v[174:175], v[94:95], s[0:1], v[180:181]
	v_pk_fma_f32 v[140:141], v[90:91], s[16:17], v[106:107] neg_lo:[1,0,0] neg_hi:[1,0,0]
	v_pk_fma_f32 v[102:103], v[98:99], s[16:17], v[106:107]
	v_mov_b32_e32 v179, v175
	v_mov_b32_e32 v141, v103
	v_pk_mul_f32 v[4:5], v[160:161], s[24:25]
	v_pk_add_f32 v[178:179], v[56:57], v[178:179]
	v_pk_fma_f32 v[108:109], v[6:7], s[18:19], v[4:5] neg_lo:[1,0,0] neg_hi:[1,0,0]
	v_pk_fma_f32 v[166:167], v[94:95], s[18:19], v[4:5]
	v_pk_add_f32 v[140:141], v[140:141], v[178:179]
	v_pk_mul_f32 v[178:179], v[88:89], s[28:29]
	v_pk_mul_f32 v[88:89], v[88:89], s[24:25]
	v_mov_b32_e32 v109, v167
	v_pk_fma_f32 v[184:185], v[90:91], s[20:21], v[178:179] neg_lo:[1,0,0] neg_hi:[1,0,0]
	v_pk_fma_f32 v[186:187], v[98:99], s[20:21], v[178:179]
	v_pk_add_f32 v[110:111], v[142:143], v[110:111]
	v_pk_fma_f32 v[90:91], v[90:91], s[18:19], v[88:89] neg_lo:[1,0,0] neg_hi:[1,0,0]
	v_pk_add_f32 v[142:143], v[144:145], v[176:177]
	v_pk_fma_f32 v[144:145], v[98:99], s[18:19], v[88:89]
	s_mov_b32 s47, s42
	v_pk_fma_f32 v[88:89], v[98:99], s[18:19], v[88:89] neg_lo:[0,0,1] neg_hi:[0,0,1]
	v_pk_add_f32 v[108:109], v[56:57], v[108:109]
	v_mov_b32_e32 v185, v187
	v_mov_b32_e32 v91, v145
	;; [unrolled: 1-line block ×3, first 2 shown]
	v_pk_mul_f32 v[88:89], v[112:113], s[46:47]
	v_pk_add_f32 v[108:109], v[184:185], v[108:109]
	v_pk_fma_f32 v[176:177], v[114:115], s[42:43], v[88:89] neg_lo:[1,0,0] neg_hi:[1,0,0]
	v_pk_fma_f32 v[184:185], v[100:101], s[42:43], v[88:89]
	v_pk_fma_f32 v[88:89], v[100:101], s[42:43], v[88:89] neg_lo:[0,0,1] neg_hi:[0,0,1]
	v_mov_b32_e32 v177, v185
	v_mov_b32_e32 v185, v89
	v_pk_mul_f32 v[88:89], v[160:161], s[6:7]
	v_pk_fma_f32 v[86:87], v[98:99], s[34:35], v[86:87] neg_lo:[0,0,1] neg_hi:[0,0,1]
	v_pk_fma_f32 v[6:7], v[6:7], s[36:37], v[88:89] neg_lo:[1,0,0] neg_hi:[1,0,0]
	v_pk_fma_f32 v[160:161], v[94:95], s[36:37], v[88:89]
	v_pk_fma_f32 v[88:89], v[94:95], s[36:37], v[88:89] neg_lo:[0,0,1] neg_hi:[0,0,1]
	v_mov_b32_e32 v7, v161
	v_mov_b32_e32 v88, v160
	v_pk_add_f32 v[6:7], v[56:57], v[6:7]
	v_pk_add_f32 v[88:89], v[56:57], v[88:89]
	;; [unrolled: 1-line block ×3, first 2 shown]
	v_pk_mul_f32 v[90:91], v[112:113], s[28:29]
	v_pk_add_f32 v[88:89], v[144:145], v[88:89]
	v_pk_fma_f32 v[144:145], v[114:115], s[20:21], v[90:91] neg_lo:[1,0,0] neg_hi:[1,0,0]
	v_pk_fma_f32 v[160:161], v[100:101], s[20:21], v[90:91]
	v_pk_add_f32 v[6:7], v[176:177], v[6:7]
	v_mov_b32_e32 v145, v161
	v_pk_add_f32 v[138:139], v[144:145], v[138:139]
	v_pk_mul_f32 v[144:145], v[112:113], s[30:31]
	v_pk_add_f32 v[88:89], v[184:185], v[88:89]
	v_pk_fma_f32 v[176:177], v[114:115], s[26:27], v[144:145] neg_lo:[1,0,0] neg_hi:[1,0,0]
	v_pk_fma_f32 v[184:185], v[100:101], s[26:27], v[144:145]
	v_pk_mul_f32 v[112:113], v[112:113], s[22:23]
	v_mov_b32_e32 v177, v185
	v_pk_add_f32 v[140:141], v[176:177], v[140:141]
	v_pk_fma_f32 v[114:115], v[114:115], s[0:1], v[112:113] neg_lo:[1,0,0] neg_hi:[1,0,0]
	v_pk_fma_f32 v[176:177], v[100:101], s[0:1], v[112:113]
	v_pk_add_f32 v[6:7], v[154:155], v[6:7]
	v_mov_b32_e32 v115, v177
	v_pk_add_f32 v[108:109], v[114:115], v[108:109]
	v_pk_add_f32 v[114:115], v[148:149], v[142:143]
	v_pk_mul_f32 v[142:143], v[118:119], s[6:7]
	v_mov_b32_e32 v1, v87
	v_pk_fma_f32 v[148:149], v[120:121], s[36:37], v[142:143] neg_lo:[1,0,0] neg_hi:[1,0,0]
	v_pk_fma_f32 v[154:155], v[82:83], s[36:37], v[142:143]
	v_pk_fma_f32 v[86:87], v[100:101], s[20:21], v[90:91] neg_lo:[0,0,1] neg_hi:[0,0,1]
	v_pk_fma_f32 v[90:91], v[82:83], s[36:37], v[142:143] neg_lo:[0,0,1] neg_hi:[0,0,1]
	;; [unrolled: 1-line block ×3, first 2 shown]
	v_pk_add_f32 v[170:171], v[56:57], v[172:173]
	s_mov_b32 s25, s38
	v_pk_add_f32 v[104:105], v[104:105], v[170:171]
	v_mov_b32_e32 v161, v87
	v_pk_add_f32 v[2:3], v[2:3], v[104:105]
	v_pk_mul_f32 v[86:87], v[118:119], s[24:25]
	v_pk_add_f32 v[2:3], v[124:125], v[2:3]
	v_mov_b32_e32 v149, v155
	v_pk_add_f32 v[2:3], v[64:65], v[2:3]
	v_pk_add_f32 v[64:65], v[66:67], v[114:115]
	v_pk_fma_f32 v[66:67], v[98:99], s[16:17], v[106:107] neg_lo:[0,0,1] neg_hi:[0,0,1]
	v_mov_b32_e32 v155, v91
	v_mov_b32_e32 v103, v67
	v_pk_fma_f32 v[66:67], v[100:101], s[26:27], v[144:145] neg_lo:[0,0,1] neg_hi:[0,0,1]
	v_pk_fma_f32 v[90:91], v[120:121], s[38:39], v[86:87] neg_lo:[1,0,0] neg_hi:[1,0,0]
	v_mov_b32_e32 v183, v143
	v_pk_fma_f32 v[142:143], v[82:83], s[38:39], v[86:87]
	v_mov_b32_e32 v185, v67
	v_pk_fma_f32 v[66:67], v[82:83], s[38:39], v[86:87] neg_lo:[0,0,1] neg_hi:[0,0,1]
	v_mov_b32_e32 v91, v143
	v_mov_b32_e32 v143, v67
	v_pk_fma_f32 v[66:67], v[94:95], s[0:1], v[180:181] neg_lo:[0,0,1] neg_hi:[0,0,1]
	v_pk_add_f32 v[138:139], v[148:149], v[138:139]
	v_pk_add_f32 v[148:149], v[56:57], v[182:183]
	v_mov_b32_e32 v175, v67
	v_pk_add_f32 v[0:1], v[0:1], v[148:149]
	v_pk_add_f32 v[66:67], v[56:57], v[174:175]
	;; [unrolled: 1-line block ×3, first 2 shown]
	s_mov_b32 s22, s27
	s_mov_b32 s23, s40
	v_pk_add_f32 v[66:67], v[102:103], v[66:67]
	v_pk_add_f32 v[0:1], v[154:155], v[0:1]
	s_mov_b32 s41, s27
	v_pk_mul_f32 v[118:119], v[118:119], s[22:23]
	v_pk_add_f32 v[104:105], v[146:147], v[110:111]
	v_pk_add_f32 v[66:67], v[184:185], v[66:67]
	v_mov_b32_e32 v149, v153
	v_pk_add_f32 v[90:91], v[90:91], v[140:141]
	v_pk_fma_f32 v[120:121], v[120:121], s[40:41], v[118:119] neg_lo:[1,0,0] neg_hi:[1,0,0]
	v_pk_fma_f32 v[140:141], v[82:83], s[40:41], v[118:119]
	v_pk_add_f32 v[84:85], v[84:85], v[136:137]
	v_pk_add_f32 v[62:63], v[62:63], v[104:105]
	v_pk_add_f32 v[0:1], v[128:129], v[0:1]
	v_mov_b32_e32 v153, v159
	v_pk_add_f32 v[66:67], v[142:143], v[66:67]
	v_mov_b32_e32 v121, v141
	v_pk_add_f32 v[84:85], v[116:117], v[84:85]
	v_pk_add_f32 v[86:87], v[152:153], v[66:67]
	;; [unrolled: 1-line block ×4, first 2 shown]
	v_pk_mul_f32 v[0:1], v[80:81], s[16:17] op_sel:[1,0] op_sel_hi:[0,0]
	v_mov_b32_e32 v160, v168
	v_mov_b32_e32 v161, v93
	v_pk_add_f32 v[108:109], v[120:121], v[108:109]
	v_pk_add_f32 v[78:79], v[78:79], v[84:85]
	;; [unrolled: 1-line block ×4, first 2 shown]
	v_pk_fma_f32 v[2:3], v[74:75], s[6:7], v[0:1] op_sel_hi:[1,0,1] neg_lo:[0,0,1] neg_hi:[0,0,1]
	v_pk_fma_f32 v[0:1], v[74:75], s[6:7], v[0:1] op_sel_hi:[1,0,1]
	v_pk_add_f32 v[102:103], v[160:161], v[108:109]
	v_pk_add_f32 v[58:59], v[70:71], v[78:79]
	;; [unrolled: 1-line block ×3, first 2 shown]
	v_mov_b32_e32 v6, v2
	v_mov_b32_e32 v7, v1
	v_pk_fma_f32 v[4:5], v[94:95], s[18:19], v[4:5] neg_lo:[0,0,1] neg_hi:[0,0,1]
	v_pk_add_f32 v[80:81], v[6:7], v[102:103]
	v_mov_b32_e32 v167, v5
	v_pk_fma_f32 v[6:7], v[98:99], s[20:21], v[178:179] neg_lo:[0,0,1] neg_hi:[0,0,1]
	v_pk_add_f32 v[4:5], v[56:57], v[166:167]
	v_mov_b32_e32 v187, v7
	v_pk_fma_f32 v[6:7], v[100:101], s[0:1], v[112:113] neg_lo:[0,0,1] neg_hi:[0,0,1]
	v_pk_add_f32 v[4:5], v[186:187], v[4:5]
	v_mov_b32_e32 v177, v7
	v_pk_fma_f32 v[6:7], v[82:83], s[40:41], v[118:119] neg_lo:[0,0,1] neg_hi:[0,0,1]
	v_pk_add_f32 v[4:5], v[176:177], v[4:5]
	v_mov_b32_e32 v141, v7
	v_mov_b32_e32 v93, v169
	v_pk_add_f32 v[4:5], v[140:141], v[4:5]
	v_mov_b32_e32 v1, v3
	v_pk_add_f32 v[4:5], v[92:93], v[4:5]
	;; [unrolled: 2-line block ×3, first 2 shown]
	v_accvgpr_read_b32 v0, a1
	v_pk_add_f32 v[88:89], v[122:123], v[88:89]
	v_pk_add_f32 v[90:91], v[148:149], v[90:91]
	v_lshl_add_u32 v165, v188, 3, v0
	v_pk_add_f32 v[84:85], v[126:127], v[88:89]
	v_pk_add_f32 v[88:89], v[156:157], v[138:139]
	;; [unrolled: 1-line block ×3, first 2 shown]
	v_add_u32_e32 v0, 0xc00, v165
	v_pk_add_f32 v[68:69], v[68:69], v[64:65]
	v_pk_add_f32 v[64:65], v[76:77], v[84:85]
	;; [unrolled: 1-line block ×4, first 2 shown]
	ds_write_b64 v165, v[96:97]
	ds_write2_b64 v165, v[66:67], v[68:69] offset0:102 offset1:204
	v_add_u32_e32 v3, 0x800, v165
	ds_write2_b64 v0, v[78:79], v[80:81] offset0:126 offset1:228
	v_add_u32_e32 v2, 0x1400, v165
	v_add_u32_e32 v1, 0x1800, v165
	;; [unrolled: 1-line block ×3, first 2 shown]
	ds_write2_b64 v3, v[70:71], v[72:73] offset0:50 offset1:152
	ds_write2_b64 v2, v[74:75], v[76:77] offset0:74 offset1:176
	ds_write2_b64 v1, v[62:63], v[64:65] offset0:150 offset1:252
	ds_write2_b64 v0, v[58:59], v[60:61] offset0:98 offset1:200
	s_waitcnt lgkmcnt(0)
	s_barrier
	s_and_saveexec_b64 s[0:1], s[4:5]
	s_cbranch_execz .LBB0_13
; %bb.12:
	v_accvgpr_read_b32 v4, a0
	v_mov_b32_e32 v5, 0
	v_lshl_add_u64 v[4:5], s[12:13], 0, v[4:5]
	v_add_co_u32_e32 v6, vcc, 0x2000, v4
	s_mov_b64 s[6:7], 0x2970
	s_nop 0
	v_addc_co_u32_e32 v7, vcc, 0, v5, vcc
	global_load_dwordx2 v[6:7], v[6:7], off offset:2416
	v_lshl_add_u64 v[56:57], v[4:5], 0, s[6:7]
	s_movk_i32 s16, 0x3000
	global_load_dwordx2 v[94:95], v[56:57], off offset:624
	global_load_dwordx2 v[102:103], v[56:57], off offset:1248
	;; [unrolled: 1-line block ×4, first 2 shown]
	v_add_co_u32_e32 v82, vcc, s16, v4
	s_movk_i32 s6, 0x4000
	s_nop 0
	v_addc_co_u32_e32 v83, vcc, 0, v5, vcc
	global_load_dwordx2 v[108:109], v[56:57], off offset:3120
	global_load_dwordx2 v[110:111], v[82:83], off offset:2688
	;; [unrolled: 1-line block ×4, first 2 shown]
                                        ; kill: killed $vgpr56_vgpr57
	s_nop 0
	global_load_dwordx2 v[56:57], v[82:83], off offset:3936
	v_add_co_u32_e32 v82, vcc, s6, v4
	v_add_u32_e32 v132, 0x400, v165
	s_nop 0
	v_addc_co_u32_e32 v83, vcc, 0, v5, vcc
	global_load_dwordx2 v[116:117], v[82:83], off offset:464
	global_load_dwordx2 v[118:119], v[82:83], off offset:1088
	global_load_dwordx2 v[120:121], v[82:83], off offset:1712
	global_load_dwordx2 v[122:123], v[82:83], off offset:2336
	global_load_dwordx2 v[124:125], v[82:83], off offset:2960
	global_load_dwordx2 v[126:127], v[82:83], off offset:3584
	v_add_co_u32_e32 v4, vcc, 0x5000, v4
	ds_read_b64 v[84:85], v165
	s_nop 0
	v_addc_co_u32_e32 v5, vcc, 0, v5, vcc
	global_load_dwordx2 v[128:129], v[4:5], off offset:112
	v_add_u32_e32 v133, 0x1000, v165
	s_waitcnt vmcnt(16) lgkmcnt(0)
	v_mul_f32_e32 v4, v85, v7
	v_mul_f32_e32 v5, v84, v7
	v_fma_f32 v4, v84, v6, -v4
	v_fmac_f32_e32 v5, v85, v6
	ds_write_b64 v165, v[4:5]
	ds_read2_b64 v[4:7], v165 offset0:78 offset1:156
	ds_read2_b64 v[82:85], v132 offset0:106 offset1:184
	;; [unrolled: 1-line block ×5, first 2 shown]
	s_waitcnt vmcnt(15) lgkmcnt(4)
	v_mul_f32_e32 v130, v5, v95
	v_mul_f32_e32 v131, v4, v95
	s_waitcnt vmcnt(14)
	v_mul_f32_e32 v134, v7, v103
	v_mul_f32_e32 v95, v6, v103
	s_waitcnt vmcnt(13) lgkmcnt(3)
	v_mul_f32_e32 v135, v83, v105
	v_mul_f32_e32 v103, v82, v105
	s_waitcnt vmcnt(12)
	v_mul_f32_e32 v136, v85, v107
	v_mul_f32_e32 v105, v84, v107
	;; [unrolled: 6-line block ×3, first 2 shown]
	s_waitcnt lgkmcnt(1)
	v_mul_f32_e32 v139, v91, v111
	v_mul_f32_e32 v113, v90, v111
	s_waitcnt vmcnt(8)
	v_mul_f32_e32 v140, v93, v115
	v_mul_f32_e32 v111, v92, v115
	v_fma_f32 v130, v4, v94, -v130
	v_fmac_f32_e32 v131, v5, v94
	v_fma_f32 v94, v6, v102, -v134
	v_fmac_f32_e32 v95, v7, v102
	;; [unrolled: 2-line block ×8, first 2 shown]
	ds_write2_b64 v165, v[130:131], v[94:95] offset0:78 offset1:156
	ds_write2_b64 v132, v[102:103], v[104:105] offset0:106 offset1:184
	;; [unrolled: 1-line block ×4, first 2 shown]
	ds_read2_b64 v[4:7], v1 offset0:90 offset1:168
	s_waitcnt vmcnt(7) lgkmcnt(5)
	v_mul_f32_e32 v141, v99, v57
	v_mul_f32_e32 v115, v98, v57
	s_waitcnt vmcnt(6)
	v_mul_f32_e32 v3, v101, v117
	v_mul_f32_e32 v57, v100, v117
	v_fma_f32 v114, v98, v56, -v141
	v_fmac_f32_e32 v115, v99, v56
	v_fma_f32 v56, v100, v116, -v3
	v_fmac_f32_e32 v57, v101, v116
	ds_write2_b64 v2, v[114:115], v[56:57] offset0:62 offset1:140
	s_waitcnt vmcnt(5) lgkmcnt(1)
	v_mul_f32_e32 v2, v5, v119
	v_mul_f32_e32 v57, v4, v119
	v_add_u32_e32 v86, 0x1c00, v165
	v_fma_f32 v56, v4, v118, -v2
	v_fmac_f32_e32 v57, v5, v118
	s_waitcnt vmcnt(4)
	v_mul_f32_e32 v82, v7, v121
	ds_read2_b64 v[2:5], v86 offset0:118 offset1:196
	v_mul_f32_e32 v83, v6, v121
	v_fma_f32 v82, v6, v120, -v82
	v_fmac_f32_e32 v83, v7, v120
	ds_write2_b64 v1, v[56:57], v[82:83] offset0:90 offset1:168
	ds_read2_b64 v[82:85], v0 offset0:146 offset1:224
	s_waitcnt vmcnt(3) lgkmcnt(2)
	v_mul_f32_e32 v1, v3, v123
	v_mul_f32_e32 v7, v2, v123
	v_fma_f32 v6, v2, v122, -v1
	v_fmac_f32_e32 v7, v3, v122
	s_waitcnt vmcnt(2)
	v_mul_f32_e32 v1, v5, v125
	v_mul_f32_e32 v3, v4, v125
	v_fma_f32 v2, v4, v124, -v1
	v_fmac_f32_e32 v3, v5, v124
	s_waitcnt vmcnt(1) lgkmcnt(0)
	v_mul_f32_e32 v1, v83, v127
	ds_write2_b64 v86, v[6:7], v[2:3] offset0:118 offset1:196
	v_fma_f32 v2, v82, v126, -v1
	v_mul_f32_e32 v3, v82, v127
	s_waitcnt vmcnt(0)
	v_mul_f32_e32 v1, v85, v129
	v_mul_f32_e32 v5, v84, v129
	v_fmac_f32_e32 v3, v83, v126
	v_fma_f32 v4, v84, v128, -v1
	v_fmac_f32_e32 v5, v85, v128
	ds_write2_b64 v0, v[2:3], v[4:5] offset0:146 offset1:224
.LBB0_13:
	s_or_b64 exec, exec, s[0:1]
	s_waitcnt lgkmcnt(0)
	s_barrier
	s_and_saveexec_b64 s[0:1], s[4:5]
	s_cbranch_execz .LBB0_15
; %bb.14:
	v_add_u32_e32 v0, 0x400, v165
	ds_read_b64 v[96:97], v165
	ds_read2_b64 v[66:69], v165 offset0:78 offset1:156
	ds_read2_b64 v[70:73], v0 offset0:106 offset1:184
	v_add_u32_e32 v0, 0x800, v165
	ds_read2_b64 v[78:81], v0 offset0:134 offset1:212
	v_add_u32_e32 v0, 0x1000, v165
	;; [unrolled: 2-line block ×6, first 2 shown]
	ds_read2_b64 v[48:51], v0 offset0:146 offset1:224
.LBB0_15:
	s_or_b64 exec, exec, s[0:1]
	s_waitcnt lgkmcnt(0)
	v_pk_add_f32 v[0:1], v[68:69], v[48:49] neg_lo:[0,1] neg_hi:[0,1]
	v_pk_add_f32 v[122:123], v[68:69], v[48:49]
	v_mov_b32_e32 v107, v0
	v_mov_b32_e32 v106, v122
	;; [unrolled: 1-line block ×3, first 2 shown]
	v_pk_add_f32 v[0:1], v[70:71], v[54:55] neg_lo:[0,1] neg_hi:[0,1]
	v_pk_add_f32 v[120:121], v[70:71], v[54:55]
	v_pk_add_f32 v[56:57], v[66:67], v[50:51] neg_lo:[0,1] neg_hi:[0,1]
	s_mov_b32 s20, 0xbf763a35
	v_mov_b32_e32 v108, v120
	v_mov_b32_e32 v109, v0
	;; [unrolled: 1-line block ×3, first 2 shown]
	v_pk_add_f32 v[124:125], v[50:51], v[66:67]
	s_mov_b32 s0, 0xbe8c1d8e
	v_pk_mul_f32 v[0:1], v[56:57], s[20:21] op_sel_hi:[1,0]
	s_mov_b32 s36, 0xbf59a7d5
	v_pk_fma_f32 v[2:3], v[124:125], s[0:1], v[0:1] op_sel:[0,0,1] op_sel_hi:[1,0,0] neg_lo:[0,0,1] neg_hi:[0,0,1]
	v_pk_fma_f32 v[138:139], v[124:125], s[0:1], v[0:1] op_sel:[0,0,1] op_sel_hi:[1,0,0]
	v_mov_b32_e32 v0, v2
	v_mov_b32_e32 v1, v139
	s_mov_b32 s30, 0x3f06c442
	s_mov_b32 s31, s36
	v_accvgpr_write_b32 a37, v3
	v_pk_add_f32 v[2:3], v[96:97], v[0:1]
	v_pk_mul_f32 v[0:1], v[122:123], s[30:31]
	s_mov_b32 s22, 0x3f2c7751
	s_mov_b32 s37, s30
	v_accvgpr_write_b32 a39, v1
	s_mov_b32 s23, 0x3f3d2fb0
	v_pk_fma_f32 v[4:5], v[106:107], s[36:37], v[0:1] neg_lo:[0,0,1] neg_hi:[0,0,1]
	v_accvgpr_write_b32 a38, v0
	v_pk_fma_f32 v[140:141], v[106:107], s[36:37], v[0:1]
	v_pk_mul_f32 v[0:1], v[120:121], s[22:23]
	s_mov_b32 s6, s23
	s_mov_b32 s7, s22
	v_accvgpr_write_b32 a41, v1
	v_pk_fma_f32 v[6:7], v[108:109], s[6:7], v[0:1] neg_lo:[0,0,1] neg_hi:[0,0,1]
	v_accvgpr_write_b32 a40, v0
	v_pk_fma_f32 v[142:143], v[108:109], s[6:7], v[0:1]
	v_pk_add_f32 v[0:1], v[72:73], v[52:53] neg_lo:[0,1] neg_hi:[0,1]
	v_pk_add_f32 v[136:137], v[72:73], v[52:53]
	v_mov_b32_e32 v111, v0
	v_mov_b32_e32 v110, v136
	v_mov_b32_e32 v136, v1
	v_pk_add_f32 v[0:1], v[78:79], v[60:61] neg_lo:[0,1] neg_hi:[0,1]
	v_pk_add_f32 v[134:135], v[78:79], v[60:61]
	v_mov_b32_e32 v113, v0
	v_mov_b32_e32 v112, v134
	v_mov_b32_e32 v134, v1
	v_pk_add_f32 v[0:1], v[80:81], v[58:59] neg_lo:[0,1] neg_hi:[0,1]
	v_pk_add_f32 v[132:133], v[80:81], v[58:59]
	v_mov_b32_e32 v115, v0
	v_mov_b32_e32 v114, v132
	v_mov_b32_e32 v132, v1
	v_pk_add_f32 v[0:1], v[74:75], v[64:65] neg_lo:[0,1] neg_hi:[0,1]
	v_pk_add_f32 v[130:131], v[74:75], v[64:65]
	v_mov_b32_e32 v117, v0
	v_mov_b32_e32 v116, v130
	v_mov_b32_e32 v130, v1
	v_pk_add_f32 v[0:1], v[76:77], v[62:63] neg_lo:[0,1] neg_hi:[0,1]
	v_pk_add_f32 v[128:129], v[76:77], v[62:63]
	s_mov_b32 s40, 0xbeb8f4ab
	v_mov_b32_e32 v118, v128
	v_mov_b32_e32 v119, v0
	;; [unrolled: 1-line block ×5, first 2 shown]
	s_mov_b32 s41, 0x3f6eb680
	v_pk_mul_f32 v[82:83], v[0:1], s[40:41]
	v_mov_b32_e32 v150, v124
	v_accvgpr_write_b32 a34, v56
	v_mov_b32_e32 v151, v56
	s_mov_b32 s18, s41
	s_mov_b32 s19, s40
	s_mov_b32 s50, 0xbf2c7751
	s_mov_b32 s51, s23
	v_accvgpr_write_b32 a35, v57
	v_pk_fma_f32 v[56:57], v[150:151], s[18:19], v[82:83] neg_lo:[0,0,1] neg_hi:[0,0,1]
	v_accvgpr_write_b32 a42, v82
	v_pk_fma_f32 v[152:153], v[150:151], s[18:19], v[82:83]
	v_pk_mul_f32 v[84:85], v[122:123], s[50:51]
	s_mov_b32 s16, s23
	s_mov_b32 s17, s50
	;; [unrolled: 1-line block ×3, first 2 shown]
	v_accvgpr_write_b32 a43, v83
	v_mov_b32_e32 v57, v153
	v_pk_fma_f32 v[82:83], v[106:107], s[16:17], v[84:85] neg_lo:[0,0,1] neg_hi:[0,0,1]
	v_accvgpr_write_b32 a44, v84
	v_pk_fma_f32 v[156:157], v[106:107], s[16:17], v[84:85]
	s_mov_b32 s57, 0x3ee437d1
	v_pk_add_f32 v[56:57], v[96:97], v[56:57]
	v_accvgpr_write_b32 a45, v85
	v_mov_b32_e32 v83, v157
	v_pk_mul_f32 v[84:85], v[120:121], s[56:57]
	s_mov_b32 s70, s57
	s_mov_b32 s71, s56
	;; [unrolled: 1-line block ×3, first 2 shown]
	v_pk_add_f32 v[56:57], v[82:83], v[56:57]
	v_pk_fma_f32 v[82:83], v[108:109], s[70:71], v[84:85] neg_lo:[0,0,1] neg_hi:[0,0,1]
	v_accvgpr_write_b32 a46, v84
	v_pk_fma_f32 v[158:159], v[108:109], s[70:71], v[84:85]
	s_mov_b32 s47, 0x3dbcf732
	v_accvgpr_write_b32 a47, v85
	v_mov_b32_e32 v83, v159
	v_pk_mul_f32 v[84:85], v[136:137], s[46:47]
	s_mov_b32 s28, s47
	s_mov_b32 s29, s46
	v_pk_add_f32 v[56:57], v[82:83], v[56:57]
	v_pk_fma_f32 v[82:83], v[110:111], s[28:29], v[84:85] neg_lo:[0,0,1] neg_hi:[0,0,1]
	v_accvgpr_write_b32 a48, v84
	v_pk_fma_f32 v[166:167], v[110:111], s[28:29], v[84:85]
	s_mov_b32 s21, s0
	v_accvgpr_write_b32 a49, v85
	v_mov_b32_e32 v83, v167
	v_pk_mul_f32 v[84:85], v[134:135], s[20:21]
	s_mov_b32 s1, s20
	s_mov_b32 s42, 0xbf4c4adb
	v_pk_add_f32 v[56:57], v[82:83], v[56:57]
	v_pk_fma_f32 v[82:83], v[112:113], s[0:1], v[84:85] neg_lo:[0,0,1] neg_hi:[0,0,1]
	v_pk_fma_f32 v[162:163], v[112:113], s[0:1], v[84:85]
	s_mov_b32 s43, 0xbf1a4643
	v_mov_b32_e32 v83, v163
	v_pk_mul_f32 v[176:177], v[132:133], s[42:43]
	s_mov_b32 s34, s43
	s_mov_b32 s35, s42
	v_pk_add_f32 v[56:57], v[82:83], v[56:57]
	v_pk_fma_f32 v[82:83], v[114:115], s[34:35], v[176:177] neg_lo:[0,0,1] neg_hi:[0,0,1]
	v_pk_fma_f32 v[172:173], v[114:115], s[34:35], v[176:177]
	s_mov_b32 s44, 0xbf06c442
	s_mov_b32 s45, s36
	v_mov_b32_e32 v83, v173
	v_pk_mul_f32 v[174:175], v[130:131], s[44:45]
	s_mov_b32 s24, s36
	s_mov_b32 s25, s44
	;; [unrolled: 1-line block ×3, first 2 shown]
	v_pk_add_f32 v[56:57], v[82:83], v[56:57]
	v_pk_fma_f32 v[82:83], v[116:117], s[24:25], v[174:175] neg_lo:[0,0,1] neg_hi:[0,0,1]
	v_pk_fma_f32 v[178:179], v[116:117], s[24:25], v[174:175]
	s_mov_b32 s49, 0xbf7ba420
	v_mov_b32_e32 v83, v179
	v_pk_mul_f32 v[188:189], v[128:129], s[48:49]
	s_mov_b32 s26, s49
	s_mov_b32 s27, s48
	v_pk_add_f32 v[56:57], v[82:83], v[56:57]
	v_pk_fma_f32 v[82:83], v[118:119], s[26:27], v[188:189] neg_lo:[0,0,1] neg_hi:[0,0,1]
	v_pk_fma_f32 v[194:195], v[118:119], s[26:27], v[188:189]
	v_pk_mul_f32 v[182:183], v[0:1], s[50:51]
	v_mov_b32_e32 v83, v195
	v_pk_add_f32 v[56:57], v[82:83], v[56:57]
	v_pk_fma_f32 v[180:181], v[150:151], s[16:17], v[182:183]
	v_accvgpr_write_b32 a24, v56
	v_accvgpr_write_b32 a25, v57
	v_pk_fma_f32 v[56:57], v[150:151], s[16:17], v[182:183] neg_lo:[0,0,1] neg_hi:[0,0,1]
	v_pk_mul_f32 v[186:187], v[122:123], s[46:47]
	v_mov_b32_e32 v57, v181
	v_pk_fma_f32 v[82:83], v[106:107], s[28:29], v[186:187] neg_lo:[0,0,1] neg_hi:[0,0,1]
	v_pk_fma_f32 v[184:185], v[106:107], s[28:29], v[186:187]
	v_pk_add_f32 v[56:57], v[96:97], v[56:57]
	v_mov_b32_e32 v83, v185
	v_pk_mul_f32 v[192:193], v[120:121], s[42:43]
	v_pk_add_f32 v[56:57], v[82:83], v[56:57]
	v_pk_fma_f32 v[82:83], v[108:109], s[34:35], v[192:193] neg_lo:[0,0,1] neg_hi:[0,0,1]
	v_pk_fma_f32 v[190:191], v[108:109], s[34:35], v[192:193]
	v_pk_mul_f32 v[198:199], v[136:137], s[48:49]
	v_mov_b32_e32 v83, v191
	v_pk_add_f32 v[56:57], v[82:83], v[56:57]
	v_pk_fma_f32 v[82:83], v[110:111], s[26:27], v[198:199] neg_lo:[0,0,1] neg_hi:[0,0,1]
	v_pk_fma_f32 v[196:197], v[110:111], s[26:27], v[198:199]
	v_pk_mul_f32 v[202:203], v[134:135], s[30:31]
	v_mov_b32_e32 v83, v197
	v_pk_add_f32 v[56:57], v[82:83], v[56:57]
	v_pk_fma_f32 v[82:83], v[112:113], s[36:37], v[202:203] neg_lo:[0,0,1] neg_hi:[0,0,1]
	v_pk_fma_f32 v[200:201], v[112:113], s[36:37], v[202:203]
	s_mov_b32 s64, 0x3f763a35
	s_mov_b32 s65, s0
	v_mov_b32_e32 v83, v201
	v_pk_mul_f32 v[204:205], v[132:133], s[64:65]
	s_mov_b32 s38, s0
	s_mov_b32 s39, s64
	v_pk_add_f32 v[56:57], v[82:83], v[56:57]
	v_pk_fma_f32 v[82:83], v[114:115], s[38:39], v[204:205] neg_lo:[0,0,1] neg_hi:[0,0,1]
	v_pk_fma_f32 v[206:207], v[114:115], s[38:39], v[204:205]
	s_mov_b32 s54, 0x3f65296c
	s_mov_b32 s55, s57
	v_mov_b32_e32 v83, v207
	v_pk_mul_f32 v[208:209], v[130:131], s[54:55]
	s_mov_b32 s30, s57
	s_mov_b32 s31, s54
	;; [unrolled: 9-line block ×3, first 2 shown]
	v_pk_add_f32 v[56:57], v[82:83], v[56:57]
	v_pk_fma_f32 v[82:83], v[118:119], s[52:53], v[212:213] neg_lo:[0,0,1] neg_hi:[0,0,1]
	v_pk_fma_f32 v[216:217], v[118:119], s[52:53], v[212:213]
	v_pk_mul_f32 v[218:219], v[0:1], s[56:57]
	v_mov_b32_e32 v83, v217
	v_pk_add_f32 v[56:57], v[82:83], v[56:57]
	v_pk_fma_f32 v[214:215], v[150:151], s[70:71], v[218:219]
	v_accvgpr_write_b32 a26, v56
	v_accvgpr_write_b32 a27, v57
	v_pk_fma_f32 v[56:57], v[150:151], s[70:71], v[218:219] neg_lo:[0,0,1] neg_hi:[0,0,1]
	v_pk_mul_f32 v[222:223], v[122:123], s[42:43]
	v_mov_b32_e32 v57, v215
	v_pk_fma_f32 v[82:83], v[106:107], s[34:35], v[222:223] neg_lo:[0,0,1] neg_hi:[0,0,1]
	v_pk_fma_f32 v[220:221], v[106:107], s[34:35], v[222:223]
	s_mov_b32 s60, 0x3e3c28d5
	s_mov_b32 s61, s49
	v_pk_add_f32 v[56:57], v[96:97], v[56:57]
	v_mov_b32_e32 v83, v221
	v_pk_mul_f32 v[224:225], v[120:121], s[60:61]
	s_mov_b32 s72, s49
	s_mov_b32 s73, s60
	v_pk_add_f32 v[56:57], v[82:83], v[56:57]
	v_pk_fma_f32 v[82:83], v[108:109], s[72:73], v[224:225] neg_lo:[0,0,1] neg_hi:[0,0,1]
	v_pk_fma_f32 v[226:227], v[108:109], s[72:73], v[224:225]
	v_pk_mul_f32 v[230:231], v[136:137], s[64:65]
	v_mov_b32_e32 v83, v227
	v_pk_add_f32 v[56:57], v[82:83], v[56:57]
	v_pk_fma_f32 v[82:83], v[110:111], s[38:39], v[230:231] neg_lo:[0,0,1] neg_hi:[0,0,1]
	v_pk_fma_f32 v[228:229], v[110:111], s[38:39], v[230:231]
	v_pk_mul_f32 v[234:235], v[134:135], s[22:23]
	v_mov_b32_e32 v83, v229
	;; [unrolled: 5-line block ×4, first 2 shown]
	v_pk_add_f32 v[56:57], v[82:83], v[56:57]
	v_pk_fma_f32 v[82:83], v[116:117], s[28:29], v[250:251] neg_lo:[0,0,1] neg_hi:[0,0,1]
	v_pk_fma_f32 v[248:249], v[116:117], s[28:29], v[250:251]
	v_accvgpr_write_b32 a50, v84
	v_mov_b32_e32 v83, v249
	v_pk_mul_f32 v[90:91], v[128:129], s[44:45]
	v_accvgpr_write_b32 a51, v85
	v_pk_add_f32 v[56:57], v[82:83], v[56:57]
	v_pk_fma_f32 v[82:83], v[118:119], s[24:25], v[90:91] neg_lo:[0,0,1] neg_hi:[0,0,1]
	v_pk_fma_f32 v[84:85], v[118:119], s[24:25], v[90:91]
	v_pk_mul_f32 v[238:239], v[0:1], s[46:47]
	v_mov_b32_e32 v83, v85
	v_pk_add_f32 v[56:57], v[82:83], v[56:57]
	v_pk_fma_f32 v[0:1], v[150:151], s[28:29], v[238:239] neg_lo:[0,0,1] neg_hi:[0,0,1]
	v_accvgpr_write_b32 a28, v56
	v_pk_fma_f32 v[236:237], v[150:151], s[28:29], v[238:239]
	v_pk_mul_f32 v[246:247], v[122:123], s[48:49]
	v_accvgpr_write_b32 a29, v57
	v_mov_b32_e32 v1, v237
	v_pk_fma_f32 v[56:57], v[106:107], s[26:27], v[246:247] neg_lo:[0,0,1] neg_hi:[0,0,1]
	v_pk_fma_f32 v[244:245], v[106:107], s[26:27], v[246:247]
	v_pk_add_f32 v[0:1], v[96:97], v[0:1]
	v_mov_b32_e32 v57, v245
	v_pk_mul_f32 v[254:255], v[120:121], s[64:65]
	v_pk_add_f32 v[0:1], v[56:57], v[0:1]
	v_pk_fma_f32 v[56:57], v[108:109], s[38:39], v[254:255] neg_lo:[0,0,1] neg_hi:[0,0,1]
	v_pk_fma_f32 v[252:253], v[108:109], s[38:39], v[254:255]
	v_pk_mul_f32 v[88:89], v[136:137], s[58:59]
	v_mov_b32_e32 v57, v253
	v_pk_add_f32 v[0:1], v[56:57], v[0:1]
	v_pk_fma_f32 v[56:57], v[110:111], s[52:53], v[88:89] neg_lo:[0,0,1] neg_hi:[0,0,1]
	v_pk_fma_f32 v[86:87], v[110:111], s[52:53], v[88:89]
	v_pk_mul_f32 v[144:145], v[134:135], s[56:57]
	v_mov_b32_e32 v57, v87
	;; [unrolled: 5-line block ×3, first 2 shown]
	v_pk_add_f32 v[0:1], v[56:57], v[0:1]
	v_pk_fma_f32 v[56:57], v[114:115], s[24:25], v[98:99] neg_lo:[0,0,1] neg_hi:[0,0,1]
	v_pk_fma_f32 v[104:105], v[114:115], s[24:25], v[98:99]
	s_mov_b32 s68, 0x3f4c4adb
	s_mov_b32 s69, s43
	v_mov_b32_e32 v57, v105
	v_pk_mul_f32 v[126:127], v[130:131], s[68:69]
	s_mov_b32 s62, s43
	s_mov_b32 s63, s68
	v_pk_add_f32 v[0:1], v[56:57], v[0:1]
	v_pk_fma_f32 v[56:57], v[116:117], s[62:63], v[126:127] neg_lo:[0,0,1] neg_hi:[0,0,1]
	v_pk_fma_f32 v[100:101], v[116:117], s[62:63], v[126:127]
	v_mov_b32_e32 v5, v141
	v_mov_b32_e32 v57, v101
	v_pk_add_f32 v[92:93], v[56:57], v[0:1]
	v_pk_mul_f32 v[0:1], v[128:129], s[22:23]
	v_pk_add_f32 v[2:3], v[4:5], v[2:3]
	v_pk_fma_f32 v[94:95], v[118:119], s[6:7], v[0:1] neg_lo:[0,0,1] neg_hi:[0,0,1]
	v_pk_fma_f32 v[56:57], v[118:119], s[6:7], v[0:1]
	v_mov_b32_e32 v7, v143
	v_mov_b32_e32 v95, v57
	v_pk_add_f32 v[92:93], v[94:95], v[92:93]
	v_pk_mul_f32 v[4:5], v[136:137], s[56:57]
	v_accvgpr_write_b32 a30, v92
	v_accvgpr_write_b32 a31, v93
	v_pk_add_f32 v[6:7], v[6:7], v[2:3]
	v_pk_fma_f32 v[92:93], v[110:111], s[70:71], v[4:5] neg_lo:[0,0,1] neg_hi:[0,0,1]
	v_pk_fma_f32 v[2:3], v[110:111], s[70:71], v[4:5]
	v_pk_mul_f32 v[102:103], v[134:135], s[48:49]
	v_mov_b32_e32 v93, v3
	v_pk_add_f32 v[92:93], v[92:93], v[6:7]
	v_pk_fma_f32 v[94:95], v[112:113], s[26:27], v[102:103] neg_lo:[0,0,1] neg_hi:[0,0,1]
	v_pk_fma_f32 v[6:7], v[112:113], s[26:27], v[102:103]
	s_mov_b32 s66, 0x3f7ee86f
	v_mov_b32_e32 v95, v7
	s_mov_b32 s67, s47
	v_pk_add_f32 v[146:147], v[94:95], v[92:93]
	v_pk_mul_f32 v[92:93], v[132:133], s[66:67]
	s_mov_b32 s60, s47
	s_mov_b32 s61, s66
	v_pk_fma_f32 v[148:149], v[114:115], s[60:61], v[92:93] neg_lo:[0,0,1] neg_hi:[0,0,1]
	v_pk_fma_f32 v[94:95], v[114:115], s[60:61], v[92:93]
	s_nop 0
	v_mov_b32_e32 v149, v95
	v_pk_add_f32 v[154:155], v[148:149], v[146:147]
	v_pk_mul_f32 v[148:149], v[130:131], s[40:41]
	s_barrier
	v_pk_fma_f32 v[160:161], v[116:117], s[18:19], v[148:149] neg_lo:[0,0,1] neg_hi:[0,0,1]
	v_pk_fma_f32 v[146:147], v[116:117], s[18:19], v[148:149]
	s_nop 0
	v_mov_b32_e32 v161, v147
	v_pk_add_f32 v[168:169], v[160:161], v[154:155]
	v_pk_mul_f32 v[160:161], v[128:129], s[42:43]
	s_nop 0
	v_pk_fma_f32 v[154:155], v[118:119], s[34:35], v[160:161] neg_lo:[0,0,1] neg_hi:[0,0,1]
	v_pk_fma_f32 v[170:171], v[118:119], s[34:35], v[160:161]
	s_nop 0
	v_mov_b32_e32 v155, v171
	v_pk_add_f32 v[154:155], v[154:155], v[168:169]
	s_and_saveexec_b64 s[56:57], s[4:5]
	s_cbranch_execz .LBB0_17
; %bb.16:
	v_pk_add_f32 v[66:67], v[66:67], v[96:97]
	v_accvgpr_write_b32 a32, v154
	v_pk_add_f32 v[66:67], v[68:69], v[66:67]
	v_pk_mul_f32 v[68:69], v[106:107], s[36:37]
	v_pk_add_f32 v[66:67], v[70:71], v[66:67]
	v_accvgpr_write_b32 a33, v155
	v_pk_add_f32 v[66:67], v[72:73], v[66:67]
	v_pk_mul_f32 v[154:155], v[108:109], s[6:7]
	v_pk_add_f32 v[66:67], v[78:79], v[66:67]
	v_pk_mul_f32 v[70:71], v[150:151], s[18:19]
	;; [unrolled: 2-line block ×7, first 2 shown]
	v_pk_add_f32 v[58:59], v[58:59], v[62:63]
	v_accvgpr_read_b32 v139, a37
	v_pk_add_f32 v[58:59], v[60:61], v[58:59]
	v_pk_mul_f32 v[64:65], v[116:117], s[24:25]
	v_pk_add_f32 v[52:53], v[52:53], v[58:59]
	v_pk_mul_f32 v[168:169], v[116:117], s[30:31]
	v_pk_add_f32 v[52:53], v[54:55], v[52:53]
	v_pk_add_f32 v[76:77], v[176:177], v[76:77] neg_lo:[0,1] neg_hi:[0,1]
	v_pk_add_f32 v[48:49], v[48:49], v[52:53]
	v_pk_mul_f32 v[52:53], v[114:115], s[38:39]
	v_pk_add_f32 v[48:49], v[50:51], v[48:49]
	v_accvgpr_write_b32 a61, v53
	v_accvgpr_write_b32 a60, v52
	v_accvgpr_read_b32 v53, a39
	v_accvgpr_read_b32 v52, a38
	v_pk_add_f32 v[68:69], v[52:53], v[68:69] neg_lo:[0,1] neg_hi:[0,1]
	v_pk_mul_f32 v[52:53], v[118:119], s[52:53]
	v_pk_mul_f32 v[50:51], v[112:113], s[36:37]
	v_accvgpr_write_b32 a59, v53
	v_accvgpr_write_b32 a58, v52
	v_accvgpr_read_b32 v53, a41
	v_accvgpr_read_b32 v52, a40
	v_pk_add_f32 v[154:155], v[52:53], v[154:155] neg_lo:[0,1] neg_hi:[0,1]
	v_pk_mul_f32 v[52:53], v[106:107], s[34:35]
	v_pk_add_f32 v[50:51], v[202:203], v[50:51] neg_lo:[0,1] neg_hi:[0,1]
	v_accvgpr_write_b32 a55, v53
	v_accvgpr_write_b32 a54, v52
	v_pk_mul_f32 v[52:53], v[108:109], s[72:73]
	v_mov_b32_e32 v201, v51
	v_accvgpr_write_b32 a52, v52
	v_accvgpr_write_b32 a53, v53
	v_accvgpr_read_b32 v53, a43
	v_accvgpr_read_b32 v52, a42
	v_pk_add_f32 v[70:71], v[52:53], v[70:71] neg_lo:[0,1] neg_hi:[0,1]
	v_pk_mul_f32 v[52:53], v[110:111], s[38:39]
	v_mov_b32_e32 v153, v71
	v_accvgpr_write_b32 a57, v53
	v_accvgpr_write_b32 a56, v52
	v_accvgpr_read_b32 v53, a45
	v_accvgpr_read_b32 v52, a44
	v_pk_add_f32 v[72:73], v[52:53], v[72:73] neg_lo:[0,1] neg_hi:[0,1]
	v_accvgpr_read_b32 v53, a47
	v_accvgpr_read_b32 v52, a46
	v_pk_add_f32 v[78:79], v[52:53], v[78:79] neg_lo:[0,1] neg_hi:[0,1]
	v_pk_mul_f32 v[52:53], v[106:107], s[26:27]
	v_mov_b32_e32 v157, v73
	v_accvgpr_write_b32 a42, v52
	v_accvgpr_write_b32 a43, v53
	v_accvgpr_read_b32 v53, a49
	v_accvgpr_read_b32 v52, a48
	v_pk_add_f32 v[80:81], v[52:53], v[80:81] neg_lo:[0,1] neg_hi:[0,1]
	v_pk_mul_f32 v[52:53], v[112:113], s[70:71]
	v_pk_add_f32 v[152:153], v[96:97], v[152:153]
	v_accvgpr_write_b32 a40, v52
	v_accvgpr_write_b32 a41, v53
	v_accvgpr_read_b32 v53, a51
	v_accvgpr_read_b32 v52, a50
	v_pk_add_f32 v[74:75], v[52:53], v[74:75] neg_lo:[0,1] neg_hi:[0,1]
	v_pk_mul_f32 v[52:53], v[118:119], s[6:7]
	v_pk_add_f32 v[152:153], v[156:157], v[152:153]
	v_accvgpr_write_b32 a38, v52
	v_mov_b32_e32 v159, v79
	v_accvgpr_write_b32 a39, v53
	v_pk_mul_f32 v[52:53], v[114:115], s[60:61]
	v_accvgpr_read_b32 v50, a60
	v_pk_add_f32 v[152:153], v[158:159], v[152:153]
	v_mov_b32_e32 v167, v81
	v_accvgpr_write_b32 a36, v52
	v_accvgpr_read_b32 v51, a61
	v_pk_add_f32 v[152:153], v[166:167], v[152:153]
	v_mov_b32_e32 v163, v75
	v_accvgpr_write_b32 a37, v53
	v_pk_add_f32 v[50:51], v[204:205], v[50:51] neg_lo:[0,1] neg_hi:[0,1]
	v_accvgpr_read_b32 v52, a54
	v_pk_mul_f32 v[66:67], v[118:119], s[26:27]
	v_pk_add_f32 v[152:153], v[162:163], v[152:153]
	v_mov_b32_e32 v173, v77
	v_pk_add_f32 v[64:65], v[174:175], v[64:65] neg_lo:[0,1] neg_hi:[0,1]
	v_mov_b32_e32 v207, v51
	v_pk_add_f32 v[50:51], v[208:209], v[168:169] neg_lo:[0,1] neg_hi:[0,1]
	v_accvgpr_read_b32 v53, a55
	v_pk_add_f32 v[152:153], v[172:173], v[152:153]
	v_mov_b32_e32 v179, v65
	v_pk_add_f32 v[66:67], v[188:189], v[66:67] neg_lo:[0,1] neg_hi:[0,1]
	v_mov_b32_e32 v211, v51
	v_accvgpr_read_b32 v50, a58
	v_pk_add_f32 v[52:53], v[222:223], v[52:53] neg_lo:[0,1] neg_hi:[0,1]
	v_accvgpr_read_b32 v3, a1
	v_accvgpr_read_b32 v7, a5
	v_pk_add_f32 v[64:65], v[178:179], v[152:153]
	v_mov_b32_e32 v195, v67
	v_accvgpr_read_b32 v51, a59
	v_mov_b32_e32 v221, v53
	v_accvgpr_read_b32 v52, a52
	v_pk_mul_f32 v[60:61], v[150:151], s[16:17]
	v_mov_b32_e32 v141, v69
	v_pk_mul_f32 v[68:69], v[150:151], s[70:71]
	v_lshl_add_u32 v176, v7, 3, v3
	v_pk_add_f32 v[64:65], v[194:195], v[64:65]
	v_pk_add_f32 v[50:51], v[212:213], v[50:51] neg_lo:[0,1] neg_hi:[0,1]
	v_accvgpr_read_b32 v53, a53
	v_pk_mul_f32 v[62:63], v[106:107], s[28:29]
	ds_write2_b64 v176, v[48:49], v[64:65] offset1:1
	v_pk_add_f32 v[48:49], v[182:183], v[60:61] neg_lo:[0,1] neg_hi:[0,1]
	v_mov_b32_e32 v217, v51
	v_pk_add_f32 v[50:51], v[218:219], v[68:69] neg_lo:[0,1] neg_hi:[0,1]
	v_pk_add_f32 v[52:53], v[224:225], v[52:53] neg_lo:[0,1] neg_hi:[0,1]
	v_pk_mul_f32 v[54:55], v[108:109], s[34:35]
	v_mov_b32_e32 v181, v49
	v_pk_add_f32 v[60:61], v[186:187], v[62:63] neg_lo:[0,1] neg_hi:[0,1]
	v_mov_b32_e32 v215, v51
	v_mov_b32_e32 v227, v53
	v_accvgpr_read_b32 v52, a56
	v_pk_mul_f32 v[58:59], v[110:111], s[26:27]
	v_pk_add_f32 v[48:49], v[96:97], v[180:181]
	v_mov_b32_e32 v185, v61
	v_pk_add_f32 v[54:55], v[192:193], v[54:55] neg_lo:[0,1] neg_hi:[0,1]
	v_pk_add_f32 v[50:51], v[96:97], v[214:215]
	v_accvgpr_read_b32 v53, a57
	v_pk_mul_f32 v[70:71], v[112:113], s[6:7]
	v_pk_add_f32 v[48:49], v[184:185], v[48:49]
	v_mov_b32_e32 v191, v55
	v_pk_add_f32 v[54:55], v[198:199], v[58:59] neg_lo:[0,1] neg_hi:[0,1]
	v_pk_add_f32 v[50:51], v[220:221], v[50:51]
	v_pk_add_f32 v[52:53], v[230:231], v[52:53] neg_lo:[0,1] neg_hi:[0,1]
	v_mov_b32_e32 v143, v155
	v_pk_mul_f32 v[154:155], v[114:115], s[18:19]
	v_pk_add_f32 v[48:49], v[190:191], v[48:49]
	v_mov_b32_e32 v197, v55
	v_pk_add_f32 v[50:51], v[226:227], v[50:51]
	v_mov_b32_e32 v229, v53
	v_pk_add_f32 v[52:53], v[234:235], v[70:71] neg_lo:[0,1] neg_hi:[0,1]
	v_pk_mul_f32 v[72:73], v[116:117], s[28:29]
	v_pk_add_f32 v[48:49], v[196:197], v[48:49]
	v_pk_add_f32 v[50:51], v[228:229], v[50:51]
	v_mov_b32_e32 v233, v53
	v_pk_add_f32 v[52:53], v[242:243], v[154:155] neg_lo:[0,1] neg_hi:[0,1]
	v_pk_mul_f32 v[156:157], v[118:119], s[24:25]
	v_pk_add_f32 v[48:49], v[200:201], v[48:49]
	v_pk_add_f32 v[50:51], v[232:233], v[50:51]
	v_mov_b32_e32 v241, v53
	v_pk_add_f32 v[52:53], v[250:251], v[72:73] neg_lo:[0,1] neg_hi:[0,1]
	v_pk_add_f32 v[48:49], v[206:207], v[48:49]
	v_pk_add_f32 v[50:51], v[240:241], v[50:51]
	v_mov_b32_e32 v249, v53
	v_pk_add_f32 v[52:53], v[90:91], v[156:157] neg_lo:[0,1] neg_hi:[0,1]
	v_pk_add_f32 v[48:49], v[210:211], v[48:49]
	v_pk_add_f32 v[50:51], v[248:249], v[50:51]
	v_mov_b32_e32 v85, v53
	v_pk_add_f32 v[48:49], v[216:217], v[48:49]
	v_pk_add_f32 v[50:51], v[84:85], v[50:51]
	ds_write2_b64 v176, v[48:49], v[50:51] offset0:2 offset1:3
	v_accvgpr_read_b32 v51, a43
	v_accvgpr_read_b32 v50, a42
	v_pk_mul_f32 v[78:79], v[108:109], s[38:39]
	v_pk_add_f32 v[50:51], v[246:247], v[50:51] neg_lo:[0,1] neg_hi:[0,1]
	v_pk_mul_f32 v[158:159], v[110:111], s[52:53]
	v_mov_b32_e32 v245, v51
	v_pk_add_f32 v[50:51], v[254:255], v[78:79] neg_lo:[0,1] neg_hi:[0,1]
	v_pk_mul_f32 v[150:151], v[150:151], s[28:29]
	v_mov_b32_e32 v253, v51
	v_pk_add_f32 v[50:51], v[88:89], v[158:159] neg_lo:[0,1] neg_hi:[0,1]
	v_pk_add_f32 v[48:49], v[238:239], v[150:151] neg_lo:[0,1] neg_hi:[0,1]
	v_mov_b32_e32 v87, v51
	v_accvgpr_read_b32 v51, a41
	v_mov_b32_e32 v237, v49
	v_accvgpr_read_b32 v50, a40
	v_pk_mul_f32 v[80:81], v[114:115], s[24:25]
	v_pk_add_f32 v[48:49], v[96:97], v[236:237]
	v_pk_add_f32 v[50:51], v[144:145], v[50:51] neg_lo:[0,1] neg_hi:[0,1]
	v_pk_mul_f32 v[166:167], v[116:117], s[62:63]
	v_pk_add_f32 v[48:49], v[244:245], v[48:49]
	v_mov_b32_e32 v83, v51
	v_pk_add_f32 v[50:51], v[98:99], v[80:81] neg_lo:[0,1] neg_hi:[0,1]
	v_pk_add_f32 v[48:49], v[252:253], v[48:49]
	v_mov_b32_e32 v105, v51
	v_pk_add_f32 v[50:51], v[126:127], v[166:167] neg_lo:[0,1] neg_hi:[0,1]
	v_pk_add_f32 v[48:49], v[86:87], v[48:49]
	v_mov_b32_e32 v101, v51
	v_accvgpr_read_b32 v51, a39
	v_pk_add_f32 v[48:49], v[82:83], v[48:49]
	v_accvgpr_read_b32 v50, a38
	v_pk_mul_f32 v[74:75], v[110:111], s[70:71]
	v_pk_add_f32 v[48:49], v[104:105], v[48:49]
	v_pk_add_f32 v[0:1], v[0:1], v[50:51] neg_lo:[0,1] neg_hi:[0,1]
	v_pk_mul_f32 v[162:163], v[112:113], s[26:27]
	v_pk_add_f32 v[48:49], v[100:101], v[48:49]
	v_mov_b32_e32 v57, v1
	v_pk_add_f32 v[4:5], v[4:5], v[74:75] neg_lo:[0,1] neg_hi:[0,1]
	v_pk_add_f32 v[0:1], v[56:57], v[48:49]
	v_pk_add_f32 v[48:49], v[96:97], v[138:139]
	v_mov_b32_e32 v3, v5
	v_pk_add_f32 v[4:5], v[102:103], v[162:163] neg_lo:[0,1] neg_hi:[0,1]
	v_pk_add_f32 v[48:49], v[140:141], v[48:49]
	v_mov_b32_e32 v7, v5
	v_accvgpr_read_b32 v4, a36
	v_pk_add_f32 v[48:49], v[142:143], v[48:49]
	v_accvgpr_read_b32 v5, a37
	v_pk_mul_f32 v[76:77], v[116:117], s[18:19]
	v_pk_add_f32 v[2:3], v[2:3], v[48:49]
	v_pk_add_f32 v[4:5], v[92:93], v[4:5] neg_lo:[0,1] neg_hi:[0,1]
	v_pk_mul_f32 v[172:173], v[118:119], s[34:35]
	v_pk_add_f32 v[2:3], v[6:7], v[2:3]
	v_mov_b32_e32 v95, v5
	v_pk_add_f32 v[4:5], v[148:149], v[76:77] neg_lo:[0,1] neg_hi:[0,1]
	v_pk_add_f32 v[2:3], v[94:95], v[2:3]
	v_mov_b32_e32 v147, v5
	v_pk_add_f32 v[4:5], v[160:161], v[172:173] neg_lo:[0,1] neg_hi:[0,1]
	v_pk_add_f32 v[2:3], v[146:147], v[2:3]
	v_mov_b32_e32 v171, v5
	v_accvgpr_read_b32 v143, a35
	v_pk_add_f32 v[2:3], v[170:171], v[2:3]
	v_accvgpr_read_b32 v142, a34
	ds_write2_b64 v176, v[0:1], v[2:3] offset0:4 offset1:5
	s_mov_b32 s70, s43
	v_pk_mul_f32 v[0:1], v[142:143], s[42:43] op_sel_hi:[1,0]
	v_pk_mul_f32 v[6:7], v[122:123], s[64:65]
	v_pk_fma_f32 v[2:3], v[124:125], s[70:71], v[0:1] op_sel:[0,0,1] op_sel_hi:[1,0,0]
	v_pk_fma_f32 v[0:1], v[124:125], s[70:71], v[0:1] op_sel:[0,0,1] op_sel_hi:[1,0,0] neg_lo:[0,0,1] neg_hi:[0,0,1]
	v_mov_b32_e32 v4, v2
	v_mov_b32_e32 v5, v1
	v_pk_fma_f32 v[48:49], v[106:107], s[38:39], v[6:7]
	v_pk_fma_f32 v[50:51], v[106:107], s[38:39], v[6:7] neg_lo:[1,0,0] neg_hi:[1,0,0]
	v_pk_add_f32 v[4:5], v[96:97], v[4:5]
	v_mov_b32_e32 v50, v48
	v_pk_add_f32 v[4:5], v[50:51], v[4:5]
	v_pk_mul_f32 v[50:51], v[120:121], s[40:41]
	v_pk_mul_f32 v[80:81], v[122:123], s[54:55]
	v_pk_fma_f32 v[52:53], v[108:109], s[18:19], v[50:51]
	v_pk_fma_f32 v[54:55], v[108:109], s[18:19], v[50:51] neg_lo:[1,0,0] neg_hi:[1,0,0]
	v_pk_fma_f32 v[82:83], v[106:107], s[30:31], v[80:81]
	v_mov_b32_e32 v54, v52
	v_pk_add_f32 v[4:5], v[54:55], v[4:5]
	v_pk_mul_f32 v[54:55], v[136:137], s[44:45]
	v_pk_fma_f32 v[84:85], v[106:107], s[30:31], v[80:81] neg_lo:[1,0,0] neg_hi:[1,0,0]
	v_pk_fma_f32 v[56:57], v[110:111], s[24:25], v[54:55]
	v_pk_fma_f32 v[58:59], v[110:111], s[24:25], v[54:55] neg_lo:[1,0,0] neg_hi:[1,0,0]
	v_mov_b32_e32 v84, v82
	v_mov_b32_e32 v58, v56
	v_pk_add_f32 v[4:5], v[58:59], v[4:5]
	v_pk_mul_f32 v[58:59], v[134:135], s[66:67]
	v_pk_mul_f32 v[122:123], v[122:123], s[58:59]
	v_pk_fma_f32 v[60:61], v[112:113], s[60:61], v[58:59]
	v_pk_fma_f32 v[62:63], v[112:113], s[60:61], v[58:59] neg_lo:[1,0,0] neg_hi:[1,0,0]
	v_mov_b32_e32 v1, v3
	v_mov_b32_e32 v62, v60
	v_pk_add_f32 v[4:5], v[62:63], v[4:5]
	v_pk_mul_f32 v[62:63], v[132:133], s[50:51]
	v_pk_fma_f32 v[2:3], v[106:107], s[38:39], v[6:7] neg_lo:[0,0,1] neg_hi:[0,0,1]
	v_pk_fma_f32 v[64:65], v[114:115], s[16:17], v[62:63]
	v_pk_fma_f32 v[66:67], v[114:115], s[16:17], v[62:63] neg_lo:[1,0,0] neg_hi:[1,0,0]
	v_pk_add_f32 v[0:1], v[96:97], v[0:1]
	v_mov_b32_e32 v66, v64
	v_pk_add_f32 v[4:5], v[66:67], v[4:5]
	v_pk_mul_f32 v[66:67], v[130:131], s[48:49]
	v_mov_b32_e32 v3, v49
	v_pk_fma_f32 v[68:69], v[116:117], s[26:27], v[66:67]
	v_pk_fma_f32 v[70:71], v[116:117], s[26:27], v[66:67] neg_lo:[1,0,0] neg_hi:[1,0,0]
	v_pk_add_f32 v[0:1], v[2:3], v[0:1]
	v_mov_b32_e32 v70, v68
	v_pk_add_f32 v[4:5], v[70:71], v[4:5]
	v_pk_mul_f32 v[70:71], v[128:129], s[54:55]
	v_pk_fma_f32 v[2:3], v[108:109], s[18:19], v[50:51] neg_lo:[0,0,1] neg_hi:[0,0,1]
	v_pk_fma_f32 v[72:73], v[118:119], s[30:31], v[70:71]
	v_pk_fma_f32 v[74:75], v[118:119], s[30:31], v[70:71] neg_lo:[1,0,0] neg_hi:[1,0,0]
	v_mov_b32_e32 v3, v53
	v_mov_b32_e32 v74, v72
	v_pk_add_f32 v[4:5], v[74:75], v[4:5]
	v_pk_mul_f32 v[74:75], v[142:143], s[44:45] op_sel_hi:[1,0]
	v_pk_add_f32 v[0:1], v[2:3], v[0:1]
	v_pk_fma_f32 v[76:77], v[124:125], s[36:37], v[74:75] op_sel:[0,0,1] op_sel_hi:[1,0,0]
	v_pk_fma_f32 v[74:75], v[124:125], s[36:37], v[74:75] op_sel:[0,0,1] op_sel_hi:[1,0,0] neg_lo:[0,0,1] neg_hi:[0,0,1]
	v_mov_b32_e32 v78, v76
	v_mov_b32_e32 v79, v75
	v_pk_add_f32 v[78:79], v[96:97], v[78:79]
	s_mov_b32 s36, s49
	v_pk_add_f32 v[78:79], v[84:85], v[78:79]
	v_pk_mul_f32 v[84:85], v[120:121], s[46:47]
	v_pk_mul_f32 v[120:121], v[120:121], s[44:45]
	v_pk_fma_f32 v[86:87], v[108:109], s[28:29], v[84:85]
	v_pk_fma_f32 v[88:89], v[108:109], s[28:29], v[84:85] neg_lo:[1,0,0] neg_hi:[1,0,0]
	v_pk_fma_f32 v[144:145], v[108:109], s[24:25], v[120:121] neg_lo:[1,0,0] neg_hi:[1,0,0]
	v_mov_b32_e32 v88, v86
	v_pk_add_f32 v[78:79], v[88:89], v[78:79]
	v_pk_mul_f32 v[88:89], v[136:137], s[68:69]
	v_pk_mul_f32 v[136:137], v[136:137], s[22:23]
	v_pk_fma_f32 v[90:91], v[110:111], s[62:63], v[88:89]
	v_pk_fma_f32 v[92:93], v[110:111], s[62:63], v[88:89] neg_lo:[1,0,0] neg_hi:[1,0,0]
	v_pk_fma_f32 v[146:147], v[110:111], s[6:7], v[136:137] neg_lo:[1,0,0] neg_hi:[1,0,0]
	v_mov_b32_e32 v92, v90
	;; [unrolled: 7-line block ×6, first 2 shown]
	v_pk_add_f32 v[78:79], v[140:141], v[78:79]
	ds_write2_b64 v176, v[4:5], v[78:79] offset0:6 offset1:7
	v_pk_mul_f32 v[4:5], v[142:143], s[48:49] op_sel_hi:[1,0]
	v_pk_fma_f32 v[140:141], v[106:107], s[52:53], v[122:123]
	v_pk_fma_f32 v[78:79], v[124:125], s[36:37], v[4:5] op_sel:[0,0,1] op_sel_hi:[1,0,0]
	v_pk_fma_f32 v[4:5], v[124:125], s[36:37], v[4:5] op_sel:[0,0,1] op_sel_hi:[1,0,0] neg_lo:[0,0,1] neg_hi:[0,0,1]
	v_mov_b32_e32 v124, v78
	v_mov_b32_e32 v125, v5
	v_pk_fma_f32 v[142:143], v[106:107], s[52:53], v[122:123] neg_lo:[1,0,0] neg_hi:[1,0,0]
	v_mov_b32_e32 v5, v79
	v_pk_fma_f32 v[78:79], v[106:107], s[52:53], v[122:123] neg_lo:[0,0,1] neg_hi:[0,0,1]
	v_pk_add_f32 v[124:125], v[96:97], v[124:125]
	v_mov_b32_e32 v142, v140
	v_pk_add_f32 v[4:5], v[96:97], v[4:5]
	v_mov_b32_e32 v79, v141
	v_pk_add_f32 v[124:125], v[142:143], v[124:125]
	v_pk_fma_f32 v[142:143], v[108:109], s[24:25], v[120:121]
	v_pk_add_f32 v[4:5], v[78:79], v[4:5]
	v_pk_fma_f32 v[78:79], v[108:109], s[24:25], v[120:121] neg_lo:[0,0,1] neg_hi:[0,0,1]
	v_mov_b32_e32 v144, v142
	v_mov_b32_e32 v79, v143
	v_pk_add_f32 v[124:125], v[144:145], v[124:125]
	v_pk_fma_f32 v[144:145], v[110:111], s[6:7], v[136:137]
	v_pk_add_f32 v[4:5], v[78:79], v[4:5]
	v_pk_fma_f32 v[78:79], v[110:111], s[6:7], v[136:137] neg_lo:[0,0,1] neg_hi:[0,0,1]
	v_mov_b32_e32 v146, v144
	;; [unrolled: 6-line block ×6, first 2 shown]
	v_mov_b32_e32 v79, v153
	v_pk_add_f32 v[124:125], v[154:155], v[124:125]
	v_pk_add_f32 v[4:5], v[78:79], v[4:5]
	v_mov_b32_e32 v75, v77
	ds_write2_b64 v176, v[124:125], v[4:5] offset0:8 offset1:9
	v_pk_add_f32 v[4:5], v[96:97], v[74:75]
	v_pk_fma_f32 v[74:75], v[106:107], s[30:31], v[80:81] neg_lo:[0,0,1] neg_hi:[0,0,1]
	v_pk_fma_f32 v[2:3], v[110:111], s[24:25], v[54:55] neg_lo:[0,0,1] neg_hi:[0,0,1]
	v_mov_b32_e32 v75, v83
	v_pk_add_f32 v[4:5], v[74:75], v[4:5]
	v_pk_fma_f32 v[74:75], v[108:109], s[28:29], v[84:85] neg_lo:[0,0,1] neg_hi:[0,0,1]
	v_mov_b32_e32 v3, v57
	v_mov_b32_e32 v75, v87
	v_pk_add_f32 v[4:5], v[74:75], v[4:5]
	v_pk_fma_f32 v[74:75], v[110:111], s[62:63], v[88:89] neg_lo:[0,0,1] neg_hi:[0,0,1]
	v_pk_add_f32 v[0:1], v[2:3], v[0:1]
	v_mov_b32_e32 v75, v91
	v_pk_add_f32 v[4:5], v[74:75], v[4:5]
	v_pk_fma_f32 v[74:75], v[112:113], s[18:19], v[92:93] neg_lo:[0,0,1] neg_hi:[0,0,1]
	v_pk_fma_f32 v[2:3], v[112:113], s[60:61], v[58:59] neg_lo:[0,0,1] neg_hi:[0,0,1]
	v_mov_b32_e32 v75, v95
	v_mov_b32_e32 v3, v61
	v_pk_add_f32 v[4:5], v[74:75], v[4:5]
	v_pk_fma_f32 v[74:75], v[114:115], s[26:27], v[98:99] neg_lo:[0,0,1] neg_hi:[0,0,1]
	v_pk_add_f32 v[0:1], v[2:3], v[0:1]
	v_pk_fma_f32 v[2:3], v[114:115], s[16:17], v[62:63] neg_lo:[0,0,1] neg_hi:[0,0,1]
	v_mov_b32_e32 v75, v101
	v_mov_b32_e32 v3, v65
	v_pk_add_f32 v[4:5], v[74:75], v[4:5]
	v_pk_fma_f32 v[74:75], v[116:117], s[6:7], v[102:103] neg_lo:[0,0,1] neg_hi:[0,0,1]
	v_pk_add_f32 v[0:1], v[2:3], v[0:1]
	;; [unrolled: 6-line block ×3, first 2 shown]
	v_pk_fma_f32 v[2:3], v[118:119], s[30:31], v[70:71] neg_lo:[0,0,1] neg_hi:[0,0,1]
	v_mov_b32_e32 v75, v139
	v_mov_b32_e32 v3, v73
	v_pk_add_f32 v[4:5], v[74:75], v[4:5]
	v_pk_add_f32 v[0:1], v[2:3], v[0:1]
	v_accvgpr_read_b32 v155, a33
	ds_write2_b64 v176, v[4:5], v[0:1] offset0:10 offset1:11
	v_accvgpr_read_b32 v0, a30
	v_accvgpr_read_b32 v154, a32
	;; [unrolled: 1-line block ×3, first 2 shown]
	ds_write2_b64 v176, v[154:155], v[0:1] offset0:12 offset1:13
	v_accvgpr_read_b32 v0, a26
	v_accvgpr_read_b32 v2, a28
	;; [unrolled: 1-line block ×4, first 2 shown]
	ds_write2_b64 v176, v[2:3], v[0:1] offset0:14 offset1:15
	ds_write_b64 v176, a[24:25] offset:128
.LBB0_17:
	s_or_b64 exec, exec, s[56:57]
	v_accvgpr_read_b32 v0, a22
	v_accvgpr_read_b32 v1, a23
	v_mov_b32_e32 v54, v0
	v_mov_b32_e32 v55, v0
	v_mov_b32_e32 v0, v1
	v_mov_b64_e32 v[92:93], v[0:1]
	v_mov_b32_e32 v0, v34
	v_mov_b32_e32 v1, v34
	v_add_u32_e32 v34, 0x400, v164
	s_waitcnt lgkmcnt(0)
	s_barrier
	ds_read2_b64 v[74:77], v34 offset0:93 offset1:195
	v_add_u32_e32 v34, 0xc00, v164
	ds_read2_b64 v[70:73], v34 offset0:58 offset1:160
	v_add_u32_e32 v34, 0x1000, v164
	;; [unrolled: 2-line block ×4, first 2 shown]
	ds_read2_b64 v[48:51], v164 offset1:102
	ds_read2_b64 v[58:61], v34 offset0:81 offset1:183
	v_accvgpr_read_b32 v85, a21
	v_accvgpr_read_b32 v84, a20
	v_mov_b32_e32 v52, v84
	v_mov_b32_e32 v53, v84
	;; [unrolled: 1-line block ×25, first 2 shown]
	v_mov_b64_e32 v[90:91], v[84:85]
	s_and_saveexec_b64 s[0:1], s[2:3]
	s_cbranch_execz .LBB0_19
; %bb.18:
	v_add_u32_e32 v84, 0xd00, v164
	ds_read2_b64 v[84:87], v84 offset0:9 offset1:230
	v_add_u32_e32 v88, 0x1b00, v164
	ds_read2_b64 a[22:25], v88 offset0:3 offset1:224
	ds_read_b64 v[154:155], v164 offset:1632
	ds_read_b64 a[16:17], v164 offset:10472
	s_waitcnt lgkmcnt(2)
	v_accvgpr_mov_b32 a27, a23
	v_accvgpr_write_b32 a30, v84
	v_accvgpr_write_b32 a28, v86
	;; [unrolled: 1-line block ×4, first 2 shown]
	v_accvgpr_mov_b32 a26, a22
.LBB0_19:
	s_or_b64 exec, exec, s[0:1]
	s_waitcnt lgkmcnt(5)
	v_pk_mul_f32 v[12:13], v[12:13], v[74:75]
	s_waitcnt lgkmcnt(4)
	v_pk_mul_f32 v[14:15], v[14:15], v[70:71]
	;; [unrolled: 2-line block ×3, first 2 shown]
	v_pk_fma_f32 v[88:89], v[82:83], v[74:75], v[12:13] op_sel:[0,0,1] op_sel_hi:[1,1,0]
	v_pk_fma_f32 v[12:13], v[82:83], v[74:75], v[12:13] op_sel:[0,0,1] op_sel_hi:[1,1,0] neg_lo:[0,0,1] neg_hi:[0,0,1]
	v_pk_fma_f32 v[74:75], v[80:81], v[70:71], v[14:15] op_sel:[0,0,1] op_sel_hi:[1,1,0]
	v_pk_fma_f32 v[14:15], v[80:81], v[70:71], v[14:15] op_sel:[0,0,1] op_sel_hi:[1,1,0] neg_lo:[0,0,1] neg_hi:[0,0,1]
	s_waitcnt lgkmcnt(2)
	v_pk_mul_f32 v[10:11], v[10:11], v[62:63]
	v_mov_b32_e32 v75, v15
	v_pk_fma_f32 v[14:15], v[78:79], v[66:67], v[8:9] op_sel:[0,0,1] op_sel_hi:[1,1,0]
	v_pk_fma_f32 v[8:9], v[78:79], v[66:67], v[8:9] op_sel:[0,0,1] op_sel_hi:[1,1,0] neg_lo:[0,0,1] neg_hi:[0,0,1]
	s_waitcnt lgkmcnt(0)
	v_pk_mul_f32 v[84:85], v[92:93], v[58:59]
	v_mov_b32_e32 v15, v9
	v_pk_fma_f32 v[8:9], v[56:57], v[62:63], v[10:11] op_sel:[0,0,1] op_sel_hi:[1,1,0]
	v_pk_fma_f32 v[10:11], v[56:57], v[62:63], v[10:11] op_sel:[0,0,1] op_sel_hi:[1,1,0] neg_lo:[0,0,1] neg_hi:[0,0,1]
	v_mov_b32_e32 v89, v13
	v_mov_b32_e32 v9, v11
	v_pk_fma_f32 v[10:11], v[54:55], v[58:59], v[84:85] op_sel:[0,0,1] op_sel_hi:[1,1,0]
	v_pk_fma_f32 v[54:55], v[54:55], v[58:59], v[84:85] op_sel:[0,0,1] op_sel_hi:[1,1,0] neg_lo:[0,0,1] neg_hi:[0,0,1]
	s_mov_b32 s0, -0.5
	v_mov_b32_e32 v11, v55
	v_pk_add_f32 v[56:57], v[14:15], v[10:11]
	v_pk_add_f32 v[54:55], v[48:49], v[74:75]
	s_mov_b32 s1, 0x3f5db3d7
	v_mov_b32_e32 v12, v88
	v_pk_add_f32 v[58:59], v[14:15], v[10:11] neg_lo:[0,1] neg_hi:[0,1]
	v_pk_add_f32 v[14:15], v[88:89], v[14:15]
	v_fmac_f32_e32 v13, -0.5, v57
	s_mov_b32 s18, 0.5
	v_pk_add_f32 v[54:55], v[54:55], v[8:9]
	v_fmac_f32_e32 v12, -0.5, v56
	v_pk_add_f32 v[10:11], v[14:15], v[10:11]
	v_fmamk_f32 v14, v58, 0x3f5db3d7, v13
	v_pk_add_f32 v[62:63], v[74:75], v[8:9]
	v_pk_add_f32 v[8:9], v[74:75], v[8:9] neg_lo:[0,1] neg_hi:[0,1]
	s_mov_b32 s16, s1
	s_mov_b32 s20, s1
	;; [unrolled: 1-line block ×3, first 2 shown]
	v_fmamk_f32 v56, v59, 0xbf5db3d7, v12
	v_pk_fma_f32 v[48:49], v[62:63], 0.5, v[48:49] op_sel_hi:[1,0,1] neg_lo:[1,0,0] neg_hi:[1,0,0]
	v_pk_mul_f32 v[8:9], v[8:9], s[16:17] op_sel_hi:[1,0]
	s_mov_b32 s19, s1
	v_pk_mul_f32 v[14:15], v[14:15], s[20:21] op_sel_hi:[0,1]
	v_pk_add_f32 v[62:63], v[48:49], v[8:9] op_sel:[0,1] op_sel_hi:[1,0] neg_lo:[0,1] neg_hi:[0,1]
	v_pk_add_f32 v[8:9], v[48:49], v[8:9] op_sel:[0,1] op_sel_hi:[1,0]
	v_pk_fma_f32 v[66:67], v[56:57], s[18:19], v[14:15] neg_lo:[0,0,1] neg_hi:[0,0,1]
	v_pk_fma_f32 v[14:15], v[56:57], s[18:19], v[14:15] op_sel_hi:[0,1,1]
	v_mov_b32_e32 v48, v62
	v_mov_b32_e32 v49, v9
	;; [unrolled: 1-line block ×3, first 2 shown]
	v_fmac_f32_e32 v12, 0x3f5db3d7, v59
	v_fmac_f32_e32 v13, 0xbf5db3d7, v58
	v_pk_add_f32 v[58:59], v[54:55], v[10:11]
	v_pk_add_f32 v[14:15], v[48:49], v[66:67]
	v_accvgpr_read_b32 v56, a18
	s_barrier
	ds_write2_b64 v56, v[58:59], v[14:15] offset1:17
	v_mov_b32_e32 v14, v13
	v_pk_mul_f32 v[14:15], v[14:15], s[20:21] op_sel_hi:[0,1]
	v_pk_fma_f32 v[12:13], v[12:13], s[0:1], v[14:15] op_sel_hi:[0,1,1] neg_lo:[0,0,1] neg_hi:[0,0,1]
	v_mov_b32_e32 v9, v63
	v_pk_add_f32 v[14:15], v[8:9], v[12:13]
	v_pk_add_f32 v[10:11], v[54:55], v[10:11] neg_lo:[0,1] neg_hi:[0,1]
	v_pk_mul_f32 v[38:39], v[38:39], v[72:73]
	ds_write2_b64 v56, v[14:15], v[10:11] offset0:34 offset1:51
	v_pk_add_f32 v[10:11], v[48:49], v[66:67] neg_lo:[0,1] neg_hi:[0,1]
	v_pk_add_f32 v[8:9], v[8:9], v[12:13] neg_lo:[0,1] neg_hi:[0,1]
	v_pk_mul_f32 v[32:33], v[32:33], v[68:69]
	ds_write2_b64 v56, v[10:11], v[8:9] offset0:68 offset1:85
	v_pk_fma_f32 v[10:11], v[4:5], v[72:73], v[38:39] op_sel:[0,0,1] op_sel_hi:[1,1,0]
	v_pk_fma_f32 v[4:5], v[4:5], v[72:73], v[38:39] op_sel:[0,0,1] op_sel_hi:[1,1,0] neg_lo:[0,0,1] neg_hi:[0,0,1]
	v_pk_mul_f32 v[34:35], v[34:35], v[64:65]
	v_mov_b32_e32 v11, v5
	v_pk_fma_f32 v[4:5], v[2:3], v[68:69], v[32:33] op_sel:[0,0,1] op_sel_hi:[1,1,0]
	v_pk_fma_f32 v[2:3], v[2:3], v[68:69], v[32:33] op_sel:[0,0,1] op_sel_hi:[1,1,0] neg_lo:[0,0,1] neg_hi:[0,0,1]
	v_pk_mul_f32 v[86:87], v[90:91], v[60:61]
	v_mov_b32_e32 v5, v3
	;; [unrolled: 4-line block ×3, first 2 shown]
	v_pk_fma_f32 v[0:1], v[52:53], v[60:61], v[86:87] op_sel:[0,0,1] op_sel_hi:[1,1,0]
	v_pk_fma_f32 v[12:13], v[52:53], v[60:61], v[86:87] op_sel:[0,0,1] op_sel_hi:[1,1,0] neg_lo:[0,0,1] neg_hi:[0,0,1]
	v_pk_fma_f32 v[8:9], v[6:7], v[76:77], v[36:37] op_sel:[0,0,1] op_sel_hi:[1,1,0]
	v_pk_fma_f32 v[6:7], v[6:7], v[76:77], v[36:37] op_sel:[0,0,1] op_sel_hi:[1,1,0] neg_lo:[0,0,1] neg_hi:[0,0,1]
	v_mov_b32_e32 v1, v13
	v_mov_b32_e32 v9, v7
	v_pk_add_f32 v[14:15], v[4:5], v[0:1]
	v_mov_b32_e32 v6, v8
	v_pk_add_f32 v[12:13], v[50:51], v[10:11]
	v_fmac_f32_e32 v6, -0.5, v14
	v_pk_add_f32 v[32:33], v[4:5], v[0:1] neg_lo:[0,1] neg_hi:[0,1]
	v_pk_add_f32 v[4:5], v[8:9], v[4:5]
	v_fmac_f32_e32 v7, -0.5, v15
	v_pk_add_f32 v[12:13], v[12:13], v[2:3]
	v_fmamk_f32 v14, v33, 0xbf5db3d7, v6
	v_fmac_f32_e32 v6, 0x3f5db3d7, v33
	v_pk_add_f32 v[0:1], v[4:5], v[0:1]
	v_fmamk_f32 v4, v32, 0x3f5db3d7, v7
	v_fmac_f32_e32 v7, 0xbf5db3d7, v32
	v_pk_add_f32 v[32:33], v[10:11], v[2:3]
	v_pk_add_f32 v[2:3], v[10:11], v[2:3] neg_lo:[0,1] neg_hi:[0,1]
	v_pk_fma_f32 v[32:33], v[32:33], 0.5, v[50:51] op_sel_hi:[1,0,1] neg_lo:[1,0,0] neg_hi:[1,0,0]
	v_pk_mul_f32 v[2:3], v[2:3], s[16:17] op_sel_hi:[1,0]
	v_pk_mul_f32 v[4:5], v[4:5], s[20:21] op_sel_hi:[0,1]
	v_pk_add_f32 v[10:11], v[32:33], v[2:3] op_sel:[0,1] op_sel_hi:[1,0] neg_lo:[0,1] neg_hi:[0,1]
	v_pk_add_f32 v[2:3], v[32:33], v[2:3] op_sel:[0,1] op_sel_hi:[1,0]
	v_pk_fma_f32 v[34:35], v[14:15], s[18:19], v[4:5] neg_lo:[0,0,1] neg_hi:[0,0,1]
	v_pk_fma_f32 v[4:5], v[14:15], s[18:19], v[4:5] op_sel_hi:[0,1,1]
	v_mov_b32_e32 v32, v10
	v_mov_b32_e32 v33, v3
	;; [unrolled: 1-line block ×3, first 2 shown]
	v_pk_add_f32 v[8:9], v[12:13], v[0:1]
	v_pk_add_f32 v[4:5], v[32:33], v[34:35]
	v_accvgpr_read_b32 v10, a19
	ds_write2_b64 v10, v[8:9], v[4:5] offset1:17
	v_mov_b32_e32 v4, v7
	v_pk_mul_f32 v[4:5], v[4:5], s[20:21] op_sel_hi:[0,1]
	v_pk_fma_f32 v[4:5], v[6:7], s[0:1], v[4:5] op_sel_hi:[0,1,1] neg_lo:[0,0,1] neg_hi:[0,0,1]
	v_mov_b32_e32 v3, v11
	v_pk_add_f32 v[6:7], v[2:3], v[4:5]
	v_pk_add_f32 v[0:1], v[12:13], v[0:1] neg_lo:[0,1] neg_hi:[0,1]
	s_mov_b32 s6, 0xbf5db3d7
	ds_write2_b64 v10, v[6:7], v[0:1] offset0:34 offset1:51
	v_pk_add_f32 v[0:1], v[32:33], v[34:35] neg_lo:[0,1] neg_hi:[0,1]
	v_pk_add_f32 v[2:3], v[2:3], v[4:5] neg_lo:[0,1] neg_hi:[0,1]
	ds_write2_b64 v10, v[0:1], v[2:3] offset0:68 offset1:85
	s_and_saveexec_b64 s[16:17], s[2:3]
	s_cbranch_execz .LBB0_21
; %bb.20:
	v_accvgpr_read_b32 v51, a9
	v_accvgpr_read_b32 v14, a28
	;; [unrolled: 1-line block ×6, first 2 shown]
	v_pk_mul_f32 v[0:1], v[50:51], v[14:15] op_sel:[0,1]
	v_accvgpr_read_b32 v54, a14
	v_accvgpr_read_b32 v13, a25
	v_accvgpr_read_b32 v57, a27
	v_accvgpr_read_b32 v10, a1
	v_accvgpr_read_b32 v11, a3
	v_accvgpr_read_b32 v53, a13
	v_accvgpr_read_b32 v52, a12
	v_pk_mul_f32 v[2:3], v[54:55], v[12:13] op_sel:[0,1]
	v_accvgpr_read_b32 v56, a26
	v_accvgpr_read_b32 v35, a11
	;; [unrolled: 1-line block ×3, first 2 shown]
	v_lshl_add_u32 v38, v11, 3, v10
	v_pk_fma_f32 v[10:11], v[50:51], v[14:15], v[0:1] op_sel:[0,0,1] op_sel_hi:[1,1,0]
	v_pk_fma_f32 v[0:1], v[50:51], v[14:15], v[0:1] op_sel:[0,0,1] op_sel_hi:[1,0,0] neg_lo:[1,0,0] neg_hi:[1,0,0]
	v_pk_mul_f32 v[6:7], v[52:53], v[56:57] op_sel:[0,1]
	v_accvgpr_read_b32 v34, a10
	v_accvgpr_read_b32 v36, a16
	v_mov_b32_e32 v11, v1
	v_pk_fma_f32 v[0:1], v[54:55], v[12:13], v[2:3] op_sel:[0,0,1] op_sel_hi:[1,1,0]
	v_pk_fma_f32 v[2:3], v[54:55], v[12:13], v[2:3] op_sel:[0,0,1] op_sel_hi:[1,0,0] neg_lo:[1,0,0] neg_hi:[1,0,0]
	v_accvgpr_read_b32 v59, a31
	v_pk_mul_f32 v[8:9], v[34:35], v[36:37] op_sel:[0,1]
	v_mov_b32_e32 v1, v3
	v_pk_fma_f32 v[32:33], v[52:53], v[56:57], v[6:7] op_sel:[0,0,1] op_sel_hi:[1,1,0]
	v_pk_fma_f32 v[6:7], v[52:53], v[56:57], v[6:7] op_sel:[0,0,1] op_sel_hi:[1,0,0] neg_lo:[1,0,0] neg_hi:[1,0,0]
	v_accvgpr_read_b32 v49, a7
	v_accvgpr_read_b32 v48, a6
	;; [unrolled: 1-line block ×3, first 2 shown]
	v_pk_add_f32 v[2:3], v[10:11], v[0:1]
	v_pk_add_f32 v[12:13], v[10:11], v[0:1] neg_lo:[0,1] neg_hi:[0,1]
	s_mov_b32 s2, s1
	v_mov_b32_e32 v33, v7
	v_pk_fma_f32 v[6:7], v[34:35], v[36:37], v[8:9] op_sel:[0,0,1] op_sel_hi:[1,1,0]
	v_pk_fma_f32 v[8:9], v[34:35], v[36:37], v[8:9] op_sel:[0,0,1] op_sel_hi:[1,0,0] neg_lo:[1,0,0] neg_hi:[1,0,0]
	v_pk_mul_f32 v[4:5], v[48:49], v[58:59] op_sel:[0,1]
	v_pk_fma_f32 v[2:3], -0.5, v[2:3], v[154:155] op_sel_hi:[0,1,1]
	v_pk_mul_f32 v[12:13], v[12:13], s[2:3] op_sel_hi:[1,0]
	v_mov_b32_e32 v7, v9
	v_pk_add_f32 v[14:15], v[12:13], v[2:3] op_sel:[1,0] op_sel_hi:[0,1]
	v_pk_add_f32 v[2:3], v[2:3], v[12:13] op_sel:[0,1] op_sel_hi:[1,0] neg_lo:[0,1] neg_hi:[0,1]
	v_pk_add_f32 v[8:9], v[32:33], v[6:7]
	v_pk_fma_f32 v[34:35], v[48:49], v[58:59], v[4:5] op_sel:[0,0,1] op_sel_hi:[1,0,0]
	v_pk_fma_f32 v[4:5], v[48:49], v[58:59], v[4:5] op_sel:[0,0,1] op_sel_hi:[1,0,0] neg_lo:[1,0,0] neg_hi:[1,0,0]
	v_mov_b32_e32 v13, v3
	v_mov_b32_e32 v35, v5
	;; [unrolled: 1-line block ×3, first 2 shown]
	v_pk_add_f32 v[36:37], v[32:33], v[6:7] neg_lo:[0,1] neg_hi:[0,1]
	v_fmac_f32_e32 v5, -0.5, v9
	v_fmac_f32_e32 v3, -0.5, v8
	v_fmamk_f32 v8, v36, 0xbf5db3d7, v5
	v_fmac_f32_e32 v5, 0x3f5db3d7, v36
	v_mov_b32_e32 v12, v14
	v_fmamk_f32 v4, v37, 0x3f5db3d7, v3
	v_fmac_f32_e32 v3, 0xbf5db3d7, v37
	v_mul_f32_e32 v14, 0.5, v5
	v_fmac_f32_e32 v14, 0x3f5db3d7, v3
	v_mul_f32_e32 v36, 0xbf5db3d7, v5
	v_pk_add_f32 v[32:33], v[34:35], v[32:33]
	s_mov_b32 s7, s0
	v_pk_add_f32 v[10:11], v[154:155], v[10:11]
	v_fmac_f32_e32 v36, 0.5, v3
	v_pk_add_f32 v[6:7], v[32:33], v[6:7]
	v_sub_f32_e32 v5, v15, v14
	v_pk_mul_f32 v[8:9], v[8:9], s[6:7] op_sel_hi:[0,1]
	v_pk_add_f32 v[0:1], v[10:11], v[0:1]
	v_pk_fma_f32 v[8:9], v[4:5], s[0:1], v[8:9] op_sel_hi:[0,1,1]
	v_sub_f32_e32 v4, v2, v36
	v_pk_add_f32 v[10:11], v[0:1], v[6:7] neg_lo:[0,1] neg_hi:[0,1]
	v_add_f32_e32 v3, v15, v14
	v_add_f32_e32 v2, v2, v36
	v_pk_add_f32 v[0:1], v[0:1], v[6:7]
	v_add_u32_e32 v6, 0x2000, v38
	ds_write2_b64 v6, v[0:1], v[2:3] offset0:200 offset1:217
	v_pk_add_f32 v[0:1], v[12:13], v[8:9]
	v_pk_add_f32 v[32:33], v[12:13], v[8:9] neg_lo:[0,1] neg_hi:[0,1]
	ds_write2_b64 v6, v[0:1], v[10:11] offset0:234 offset1:251
	v_add_u32_e32 v0, 0x2800, v38
	ds_write2_b64 v0, v[4:5], v[32:33] offset0:12 offset1:29
.LBB0_21:
	s_or_b64 exec, exec, s[16:17]
	v_add_u32_e32 v4, 0x800, v164
	s_waitcnt lgkmcnt(0)
	s_barrier
	ds_read2_b64 v[4:7], v4 offset0:152 offset1:254
	v_add_u32_e32 v8, 0x1000, v164
	ds_read2_b64 v[8:11], v8 offset0:100 offset1:202
	v_add_u32_e32 v12, 0x1800, v164
	ds_read2_b64 v[12:15], v12 offset0:48 offset1:150
	s_waitcnt lgkmcnt(2)
	v_pk_mul_f32 v[38:39], v[18:19], v[4:5] op_sel:[1,0]
	v_add_u32_e32 v32, 0x1c00, v164
	v_pk_fma_f32 v[48:49], v[18:19], v[4:5], v[38:39] op_sel:[0,0,1] op_sel_hi:[1,1,0]
	v_pk_fma_f32 v[4:5], v[18:19], v[4:5], v[38:39] op_sel:[0,0,1] op_sel_hi:[0,1,0] neg_lo:[0,0,1] neg_hi:[0,0,1]
	v_mov_b32_e32 v49, v5
	v_pk_mul_f32 v[4:5], v[28:29], v[6:7] op_sel:[1,0]
	ds_read2_b64 v[0:3], v164 offset1:102
	v_pk_fma_f32 v[18:19], v[28:29], v[6:7], v[4:5] op_sel:[0,0,1] op_sel_hi:[1,1,0]
	v_pk_fma_f32 v[4:5], v[28:29], v[6:7], v[4:5] op_sel:[0,0,1] op_sel_hi:[0,1,0] neg_lo:[0,0,1] neg_hi:[0,0,1]
	v_mov_b32_e32 v19, v5
	s_waitcnt lgkmcnt(2)
	v_pk_mul_f32 v[4:5], v[30:31], v[8:9] op_sel:[1,0]
	ds_read2_b64 v[32:35], v32 offset0:124 offset1:226
	ds_read_b64 v[36:37], v164 offset:9792
	v_pk_fma_f32 v[28:29], v[30:31], v[8:9], v[4:5] op_sel:[0,0,1] op_sel_hi:[1,1,0]
	v_pk_fma_f32 v[4:5], v[30:31], v[8:9], v[4:5] op_sel:[0,0,1] op_sel_hi:[0,1,0] neg_lo:[0,0,1] neg_hi:[0,0,1]
	v_mov_b32_e32 v29, v5
	v_pk_mul_f32 v[4:5], v[24:25], v[10:11] op_sel:[1,0]
	s_movk_i32 s3, 0x1000
	v_pk_fma_f32 v[30:31], v[24:25], v[10:11], v[4:5] op_sel:[0,0,1] op_sel_hi:[1,1,0]
	v_pk_fma_f32 v[4:5], v[24:25], v[10:11], v[4:5] op_sel:[0,0,1] op_sel_hi:[0,1,0] neg_lo:[0,0,1] neg_hi:[0,0,1]
	v_mov_b32_e32 v31, v5
	s_waitcnt lgkmcnt(3)
	v_pk_mul_f32 v[4:5], v[26:27], v[12:13] op_sel:[1,0]
	s_mov_b32 s2, 0xbeedf032
	v_pk_fma_f32 v[24:25], v[26:27], v[12:13], v[4:5] op_sel:[0,0,1] op_sel_hi:[1,1,0]
	v_pk_fma_f32 v[4:5], v[26:27], v[12:13], v[4:5] op_sel:[0,0,1] op_sel_hi:[0,1,0] neg_lo:[0,0,1] neg_hi:[0,0,1]
	v_mov_b32_e32 v25, v5
	v_pk_mul_f32 v[4:5], v[44:45], v[14:15] op_sel:[1,0]
	s_mov_b32 s0, 0x3f62ad3f
	v_pk_fma_f32 v[26:27], v[44:45], v[14:15], v[4:5] op_sel:[0,0,1] op_sel_hi:[1,1,0]
	v_pk_fma_f32 v[4:5], v[44:45], v[14:15], v[4:5] op_sel:[0,0,1] op_sel_hi:[0,1,0] neg_lo:[0,0,1] neg_hi:[0,0,1]
	v_mov_b32_e32 v27, v5
	s_waitcnt lgkmcnt(1)
	v_pk_mul_f32 v[4:5], v[46:47], v[32:33] op_sel:[1,0]
	v_pk_mul_f32 v[14:15], v[20:21], v[2:3] op_sel:[1,0]
	v_pk_fma_f32 v[10:11], v[46:47], v[32:33], v[4:5] op_sel:[0,0,1] op_sel_hi:[1,1,0]
	v_pk_fma_f32 v[4:5], v[46:47], v[32:33], v[4:5] op_sel:[0,0,1] op_sel_hi:[0,1,0] neg_lo:[0,0,1] neg_hi:[0,0,1]
	v_mov_b32_e32 v11, v5
	v_pk_mul_f32 v[4:5], v[40:41], v[34:35] op_sel:[1,0]
	v_pk_fma_f32 v[32:33], v[20:21], v[2:3], v[14:15] op_sel:[0,0,1] op_sel_hi:[1,1,0]
	v_pk_fma_f32 v[8:9], v[40:41], v[34:35], v[4:5] op_sel:[0,0,1] op_sel_hi:[1,1,0]
	v_pk_fma_f32 v[4:5], v[40:41], v[34:35], v[4:5] op_sel:[0,0,1] op_sel_hi:[0,1,0] neg_lo:[0,0,1] neg_hi:[0,0,1]
	v_mov_b32_e32 v9, v5
	s_waitcnt lgkmcnt(0)
	v_pk_mul_f32 v[4:5], v[42:43], v[36:37] op_sel:[1,0]
	v_pk_fma_f32 v[2:3], v[20:21], v[2:3], v[14:15] op_sel:[0,0,1] op_sel_hi:[0,1,0] neg_lo:[0,0,1] neg_hi:[0,0,1]
	v_pk_fma_f32 v[12:13], v[42:43], v[36:37], v[4:5] op_sel:[0,0,1] op_sel_hi:[1,1,0]
	v_pk_fma_f32 v[4:5], v[42:43], v[36:37], v[4:5] op_sel:[0,0,1] op_sel_hi:[0,1,0] neg_lo:[0,0,1] neg_hi:[0,0,1]
	v_add_u32_e32 v4, 0x400, v164
	v_mov_b32_e32 v13, v5
	ds_read2_b64 v[4:7], v4 offset0:76 offset1:178
	v_mov_b32_e32 v33, v3
	v_pk_add_f32 v[50:51], v[32:33], v[12:13] neg_lo:[0,1] neg_hi:[0,1]
	v_pk_add_f32 v[46:47], v[32:33], v[12:13]
	s_mov_b32 s22, 0xbf52af12
	s_waitcnt lgkmcnt(0)
	v_pk_mul_f32 v[2:3], v[22:23], v[4:5] op_sel:[1,0]
	s_mov_b32 s34, 0xbf7e222b
	v_pk_fma_f32 v[14:15], v[22:23], v[4:5], v[2:3] op_sel:[0,0,1] op_sel_hi:[1,1,0]
	v_pk_fma_f32 v[2:3], v[22:23], v[4:5], v[2:3] op_sel:[0,0,1] op_sel_hi:[0,1,0] neg_lo:[0,0,1] neg_hi:[0,0,1]
	v_mov_b32_e32 v15, v3
	v_pk_mul_f32 v[2:3], v[16:17], v[6:7] op_sel:[1,0]
	v_pk_mul_f32 v[4:5], v[50:51], s[2:3] op_sel_hi:[1,0]
	v_pk_fma_f32 v[20:21], v[16:17], v[6:7], v[2:3] op_sel:[0,0,1] op_sel_hi:[1,1,0]
	v_pk_fma_f32 v[2:3], v[16:17], v[6:7], v[2:3] op_sel:[0,0,1] op_sel_hi:[0,1,0] neg_lo:[0,0,1] neg_hi:[0,0,1]
	v_mov_b32_e32 v21, v3
	v_pk_add_f32 v[2:3], v[0:1], v[32:33]
	v_pk_add_f32 v[54:55], v[14:15], v[8:9] neg_lo:[0,1] neg_hi:[0,1]
	v_pk_add_f32 v[2:3], v[2:3], v[14:15]
	v_pk_add_f32 v[52:53], v[14:15], v[8:9]
	;; [unrolled: 1-line block ×3, first 2 shown]
	s_mov_b32 s2, 0x3f116cb1
	v_pk_add_f32 v[2:3], v[2:3], v[48:49]
	v_pk_add_f32 v[58:59], v[20:21], v[10:11] neg_lo:[0,1] neg_hi:[0,1]
	v_pk_add_f32 v[2:3], v[2:3], v[18:19]
	v_pk_add_f32 v[56:57], v[20:21], v[10:11]
	;; [unrolled: 1-line block ×3, first 2 shown]
	s_mov_b32 s6, 0x3df6dbef
	v_pk_add_f32 v[2:3], v[2:3], v[30:31]
	v_pk_add_f32 v[60:61], v[48:49], v[26:27]
	;; [unrolled: 1-line block ×3, first 2 shown]
	v_pk_add_f32 v[48:49], v[48:49], v[26:27] neg_lo:[0,1] neg_hi:[0,1]
	v_pk_add_f32 v[2:3], v[2:3], v[26:27]
	s_mov_b32 s18, 0xbf6f5d39
	v_pk_add_f32 v[2:3], v[2:3], v[10:11]
	s_mov_b32 s16, 0xbeb58ec6
	v_pk_add_f32 v[2:3], v[2:3], v[8:9]
	v_pk_mul_f32 v[8:9], v[54:55], s[22:23] op_sel_hi:[1,0]
	v_pk_add_f32 v[34:35], v[2:3], v[12:13]
	v_pk_fma_f32 v[2:3], v[46:47], s[0:1], v[4:5] op_sel:[0,0,1] op_sel_hi:[1,0,0]
	v_pk_fma_f32 v[4:5], v[46:47], s[0:1], v[4:5] op_sel:[0,0,1] op_sel_hi:[1,0,0] neg_lo:[0,0,1] neg_hi:[0,0,1]
	v_mov_b32_e32 v6, v2
	v_mov_b32_e32 v7, v5
	v_pk_add_f32 v[12:13], v[0:1], v[6:7]
	v_pk_fma_f32 v[6:7], v[52:53], s[2:3], v[8:9] op_sel:[0,0,1] op_sel_hi:[1,0,0]
	v_pk_fma_f32 v[8:9], v[52:53], s[2:3], v[8:9] op_sel:[0,0,1] op_sel_hi:[1,0,0] neg_lo:[0,0,1] neg_hi:[0,0,1]
	v_mov_b32_e32 v14, v6
	v_mov_b32_e32 v15, v9
	v_pk_add_f32 v[14:15], v[14:15], v[12:13]
	v_pk_mul_f32 v[12:13], v[58:59], s[34:35] op_sel_hi:[1,0]
	v_pk_add_f32 v[64:65], v[18:19], v[24:25] neg_lo:[0,1] neg_hi:[0,1]
	v_pk_fma_f32 v[10:11], v[56:57], s[6:7], v[12:13] op_sel:[0,0,1] op_sel_hi:[1,0,0]
	v_pk_fma_f32 v[12:13], v[56:57], s[6:7], v[12:13] op_sel:[0,0,1] op_sel_hi:[1,0,0] neg_lo:[0,0,1] neg_hi:[0,0,1]
	v_mov_b32_e32 v16, v10
	v_mov_b32_e32 v17, v13
	v_pk_add_f32 v[20:21], v[16:17], v[14:15]
	v_pk_mul_f32 v[16:17], v[48:49], s[18:19] op_sel_hi:[1,0]
	s_mov_b32 s24, 0xbf29c268
	v_pk_fma_f32 v[14:15], v[60:61], s[16:17], v[16:17] op_sel:[0,0,1] op_sel_hi:[1,0,0]
	v_pk_fma_f32 v[16:17], v[60:61], s[16:17], v[16:17] op_sel:[0,0,1] op_sel_hi:[1,0,0] neg_lo:[0,0,1] neg_hi:[0,0,1]
	v_mov_b32_e32 v22, v14
	v_mov_b32_e32 v23, v17
	v_pk_add_f32 v[22:23], v[22:23], v[20:21]
	v_pk_add_f32 v[62:63], v[18:19], v[24:25]
	s_mov_b32 s20, 0xbf3f9e67
	v_pk_mul_f32 v[20:21], v[64:65], s[24:25] op_sel_hi:[1,0]
	v_pk_add_f32 v[68:69], v[28:29], v[30:31] neg_lo:[0,1] neg_hi:[0,1]
	v_pk_fma_f32 v[18:19], v[62:63], s[20:21], v[20:21] op_sel:[0,0,1] op_sel_hi:[1,0,0]
	v_pk_fma_f32 v[20:21], v[62:63], s[20:21], v[20:21] op_sel:[0,0,1] op_sel_hi:[1,0,0] neg_lo:[0,0,1] neg_hi:[0,0,1]
	v_mov_b32_e32 v24, v18
	v_mov_b32_e32 v25, v21
	s_mov_b32 s28, 0xbe750f2a
	v_pk_add_f32 v[26:27], v[24:25], v[22:23]
	v_pk_add_f32 v[66:67], v[28:29], v[30:31]
	s_mov_b32 s26, 0xbf788fa5
	v_pk_mul_f32 v[24:25], v[68:69], s[28:29] op_sel_hi:[1,0]
	v_pk_mul_f32 v[32:33], v[54:55], s[18:19] op_sel_hi:[1,0]
	v_pk_fma_f32 v[22:23], v[66:67], s[26:27], v[24:25] op_sel:[0,0,1] op_sel_hi:[1,0,0]
	v_pk_fma_f32 v[24:25], v[66:67], s[26:27], v[24:25] op_sel:[0,0,1] op_sel_hi:[1,0,0] neg_lo:[0,0,1] neg_hi:[0,0,1]
	v_mov_b32_e32 v28, v22
	v_mov_b32_e32 v29, v25
	v_pk_add_f32 v[70:71], v[28:29], v[26:27]
	v_pk_mul_f32 v[28:29], v[50:51], s[22:23] op_sel_hi:[1,0]
	ds_write_b64 v165, v[34:35]
	v_pk_fma_f32 v[26:27], v[46:47], s[2:3], v[28:29] op_sel:[0,0,1] op_sel_hi:[1,0,0]
	v_pk_fma_f32 v[28:29], v[46:47], s[2:3], v[28:29] op_sel:[0,0,1] op_sel_hi:[1,0,0] neg_lo:[0,0,1] neg_hi:[0,0,1]
	v_mov_b32_e32 v30, v26
	v_mov_b32_e32 v31, v29
	v_pk_add_f32 v[34:35], v[0:1], v[30:31]
	v_pk_fma_f32 v[30:31], v[52:53], s[16:17], v[32:33] op_sel:[0,0,1] op_sel_hi:[1,0,0]
	v_pk_fma_f32 v[32:33], v[52:53], s[16:17], v[32:33] op_sel:[0,0,1] op_sel_hi:[1,0,0] neg_lo:[0,0,1] neg_hi:[0,0,1]
	v_mov_b32_e32 v36, v30
	v_mov_b32_e32 v37, v33
	v_pk_add_f32 v[38:39], v[36:37], v[34:35]
	v_pk_mul_f32 v[36:37], v[58:59], s[28:29] op_sel_hi:[1,0]
	s_mov_b32 s38, 0x3f29c268
	v_pk_fma_f32 v[34:35], v[56:57], s[26:27], v[36:37] op_sel:[0,0,1] op_sel_hi:[1,0,0]
	v_pk_fma_f32 v[36:37], v[56:57], s[26:27], v[36:37] op_sel:[0,0,1] op_sel_hi:[1,0,0] neg_lo:[0,0,1] neg_hi:[0,0,1]
	v_mov_b32_e32 v40, v34
	v_mov_b32_e32 v41, v37
	v_pk_add_f32 v[42:43], v[40:41], v[38:39]
	v_pk_mul_f32 v[40:41], v[48:49], s[38:39] op_sel_hi:[1,0]
	s_mov_b32 s30, 0x3f7e222b
	;; [unrolled: 7-line block ×3, first 2 shown]
	v_pk_fma_f32 v[42:43], v[62:63], s[6:7], v[44:45] op_sel:[0,0,1] op_sel_hi:[1,0,0]
	v_pk_fma_f32 v[44:45], v[62:63], s[6:7], v[44:45] op_sel:[0,0,1] op_sel_hi:[1,0,0] neg_lo:[0,0,1] neg_hi:[0,0,1]
	v_mov_b32_e32 v74, v42
	v_mov_b32_e32 v75, v45
	v_pk_add_f32 v[72:73], v[74:75], v[72:73]
	v_pk_mul_f32 v[74:75], v[68:69], s[36:37] op_sel_hi:[1,0]
	v_pk_mul_f32 v[80:81], v[54:55], s[28:29] op_sel_hi:[1,0]
	v_pk_fma_f32 v[76:77], v[66:67], s[0:1], v[74:75] op_sel:[0,0,1] op_sel_hi:[1,0,0]
	v_pk_fma_f32 v[74:75], v[66:67], s[0:1], v[74:75] op_sel:[0,0,1] op_sel_hi:[1,0,0] neg_lo:[0,0,1] neg_hi:[0,0,1]
	v_mov_b32_e32 v78, v76
	v_mov_b32_e32 v79, v75
	v_pk_add_f32 v[72:73], v[78:79], v[72:73]
	ds_write2_b64 v165, v[70:71], v[72:73] offset0:102 offset1:204
	v_pk_mul_f32 v[70:71], v[50:51], s[34:35] op_sel_hi:[1,0]
	v_pk_fma_f32 v[82:83], v[52:53], s[26:27], v[80:81] op_sel:[0,0,1] op_sel_hi:[1,0,0]
	v_pk_fma_f32 v[72:73], v[46:47], s[6:7], v[70:71] op_sel:[0,0,1] op_sel_hi:[1,0,0]
	v_pk_fma_f32 v[70:71], v[46:47], s[6:7], v[70:71] op_sel:[0,0,1] op_sel_hi:[1,0,0] neg_lo:[0,0,1] neg_hi:[0,0,1]
	v_mov_b32_e32 v78, v72
	v_mov_b32_e32 v79, v71
	v_pk_fma_f32 v[80:81], v[52:53], s[26:27], v[80:81] op_sel:[0,0,1] op_sel_hi:[1,0,0] neg_lo:[0,0,1] neg_hi:[0,0,1]
	v_pk_add_f32 v[78:79], v[0:1], v[78:79]
	v_mov_b32_e32 v84, v82
	v_mov_b32_e32 v85, v81
	s_mov_b32 s40, 0x3f6f5d39
	v_pk_add_f32 v[78:79], v[84:85], v[78:79]
	v_pk_mul_f32 v[84:85], v[58:59], s[40:41] op_sel_hi:[1,0]
	v_pk_mul_f32 v[106:107], v[54:55], s[38:39] op_sel_hi:[1,0]
	v_pk_fma_f32 v[86:87], v[56:57], s[16:17], v[84:85] op_sel:[0,0,1] op_sel_hi:[1,0,0]
	v_pk_fma_f32 v[84:85], v[56:57], s[16:17], v[84:85] op_sel:[0,0,1] op_sel_hi:[1,0,0] neg_lo:[0,0,1] neg_hi:[0,0,1]
	v_mov_b32_e32 v88, v86
	v_mov_b32_e32 v89, v85
	v_pk_add_f32 v[78:79], v[88:89], v[78:79]
	v_pk_mul_f32 v[88:89], v[48:49], s[36:37] op_sel_hi:[1,0]
	v_pk_fma_f32 v[108:109], v[52:53], s[20:21], v[106:107] op_sel:[0,0,1] op_sel_hi:[1,0,0]
	v_pk_fma_f32 v[90:91], v[60:61], s[0:1], v[88:89] op_sel:[0,0,1] op_sel_hi:[1,0,0]
	v_pk_fma_f32 v[88:89], v[60:61], s[0:1], v[88:89] op_sel:[0,0,1] op_sel_hi:[1,0,0] neg_lo:[0,0,1] neg_hi:[0,0,1]
	v_mov_b32_e32 v92, v90
	v_mov_b32_e32 v93, v89
	v_pk_add_f32 v[78:79], v[92:93], v[78:79]
	v_pk_mul_f32 v[92:93], v[64:65], s[22:23] op_sel_hi:[1,0]
	v_pk_fma_f32 v[106:107], v[52:53], s[20:21], v[106:107] op_sel:[0,0,1] op_sel_hi:[1,0,0] neg_lo:[0,0,1] neg_hi:[0,0,1]
	v_pk_fma_f32 v[94:95], v[62:63], s[2:3], v[92:93] op_sel:[0,0,1] op_sel_hi:[1,0,0]
	v_pk_fma_f32 v[92:93], v[62:63], s[2:3], v[92:93] op_sel:[0,0,1] op_sel_hi:[1,0,0] neg_lo:[0,0,1] neg_hi:[0,0,1]
	v_mov_b32_e32 v96, v94
	v_mov_b32_e32 v97, v93
	v_pk_add_f32 v[78:79], v[96:97], v[78:79]
	v_pk_mul_f32 v[96:97], v[68:69], s[24:25] op_sel_hi:[1,0]
	v_mov_b32_e32 v110, v108
	v_pk_fma_f32 v[98:99], v[66:67], s[20:21], v[96:97] op_sel:[0,0,1] op_sel_hi:[1,0,0]
	v_pk_fma_f32 v[96:97], v[66:67], s[20:21], v[96:97] op_sel:[0,0,1] op_sel_hi:[1,0,0] neg_lo:[0,0,1] neg_hi:[0,0,1]
	v_mov_b32_e32 v100, v98
	v_mov_b32_e32 v101, v97
	v_pk_add_f32 v[78:79], v[100:101], v[78:79]
	v_pk_mul_f32 v[100:101], v[50:51], s[18:19] op_sel_hi:[1,0]
	v_mov_b32_e32 v111, v107
	v_pk_fma_f32 v[102:103], v[46:47], s[16:17], v[100:101] op_sel:[0,0,1] op_sel_hi:[1,0,0]
	v_pk_fma_f32 v[100:101], v[46:47], s[16:17], v[100:101] op_sel:[0,0,1] op_sel_hi:[1,0,0] neg_lo:[0,0,1] neg_hi:[0,0,1]
	v_mov_b32_e32 v104, v102
	v_mov_b32_e32 v105, v101
	v_pk_add_f32 v[104:105], v[0:1], v[104:105]
	s_mov_b32 s38, 0x3f52af12
	v_pk_add_f32 v[104:105], v[110:111], v[104:105]
	v_pk_mul_f32 v[110:111], v[58:59], s[36:37] op_sel_hi:[1,0]
	v_add_u32_e32 v10, 0x800, v165
	v_pk_fma_f32 v[112:113], v[56:57], s[0:1], v[110:111] op_sel:[0,0,1] op_sel_hi:[1,0,0]
	v_pk_fma_f32 v[110:111], v[56:57], s[0:1], v[110:111] op_sel:[0,0,1] op_sel_hi:[1,0,0] neg_lo:[0,0,1] neg_hi:[0,0,1]
	v_mov_b32_e32 v114, v112
	v_mov_b32_e32 v115, v111
	v_pk_add_f32 v[104:105], v[114:115], v[104:105]
	v_pk_mul_f32 v[114:115], v[48:49], s[34:35] op_sel_hi:[1,0]
	s_mov_b32 s34, 0x3e750f2a
	v_pk_fma_f32 v[116:117], v[60:61], s[6:7], v[114:115] op_sel:[0,0,1] op_sel_hi:[1,0,0]
	v_pk_fma_f32 v[114:115], v[60:61], s[6:7], v[114:115] op_sel:[0,0,1] op_sel_hi:[1,0,0] neg_lo:[0,0,1] neg_hi:[0,0,1]
	v_mov_b32_e32 v118, v116
	v_mov_b32_e32 v119, v115
	v_pk_add_f32 v[104:105], v[118:119], v[104:105]
	v_pk_mul_f32 v[118:119], v[64:65], s[34:35] op_sel_hi:[1,0]
	v_pk_mul_f32 v[128:129], v[54:55], s[30:31] op_sel_hi:[1,0]
	v_pk_fma_f32 v[120:121], v[62:63], s[26:27], v[118:119] op_sel:[0,0,1] op_sel_hi:[1,0,0]
	v_pk_fma_f32 v[118:119], v[62:63], s[26:27], v[118:119] op_sel:[0,0,1] op_sel_hi:[1,0,0] neg_lo:[0,0,1] neg_hi:[0,0,1]
	v_mov_b32_e32 v122, v120
	v_mov_b32_e32 v123, v119
	v_pk_add_f32 v[104:105], v[122:123], v[104:105]
	v_pk_mul_f32 v[122:123], v[68:69], s[38:39] op_sel_hi:[1,0]
	v_pk_fma_f32 v[130:131], v[52:53], s[6:7], v[128:129] op_sel:[0,0,1] op_sel_hi:[1,0,0]
	v_pk_fma_f32 v[124:125], v[66:67], s[2:3], v[122:123] op_sel:[0,0,1] op_sel_hi:[1,0,0]
	v_pk_fma_f32 v[122:123], v[66:67], s[2:3], v[122:123] op_sel:[0,0,1] op_sel_hi:[1,0,0] neg_lo:[0,0,1] neg_hi:[0,0,1]
	v_mov_b32_e32 v126, v124
	v_mov_b32_e32 v127, v123
	v_pk_add_f32 v[104:105], v[126:127], v[104:105]
	ds_write2_b64 v10, v[78:79], v[104:105] offset0:50 offset1:152
	v_pk_mul_f32 v[78:79], v[50:51], s[24:25] op_sel_hi:[1,0]
	v_pk_fma_f32 v[128:129], v[52:53], s[6:7], v[128:129] op_sel:[0,0,1] op_sel_hi:[1,0,0] neg_lo:[0,0,1] neg_hi:[0,0,1]
	v_pk_fma_f32 v[104:105], v[46:47], s[20:21], v[78:79] op_sel:[0,0,1] op_sel_hi:[1,0,0]
	v_pk_fma_f32 v[78:79], v[46:47], s[20:21], v[78:79] op_sel:[0,0,1] op_sel_hi:[1,0,0] neg_lo:[0,0,1] neg_hi:[0,0,1]
	v_mov_b32_e32 v126, v104
	v_mov_b32_e32 v127, v79
	v_pk_add_f32 v[126:127], v[0:1], v[126:127]
	v_mov_b32_e32 v132, v130
	v_mov_b32_e32 v133, v129
	v_pk_add_f32 v[126:127], v[132:133], v[126:127]
	v_pk_mul_f32 v[132:133], v[58:59], s[22:23] op_sel_hi:[1,0]
	v_pk_mul_f32 v[50:51], v[50:51], s[28:29] op_sel_hi:[1,0]
	v_pk_fma_f32 v[134:135], v[56:57], s[2:3], v[132:133] op_sel:[0,0,1] op_sel_hi:[1,0,0]
	v_pk_fma_f32 v[132:133], v[56:57], s[2:3], v[132:133] op_sel:[0,0,1] op_sel_hi:[1,0,0] neg_lo:[0,0,1] neg_hi:[0,0,1]
	v_mov_b32_e32 v136, v134
	v_mov_b32_e32 v137, v133
	v_pk_add_f32 v[126:127], v[136:137], v[126:127]
	v_pk_mul_f32 v[136:137], v[48:49], s[34:35] op_sel_hi:[1,0]
	v_pk_mul_f32 v[54:55], v[54:55], s[36:37] op_sel_hi:[1,0]
	v_pk_fma_f32 v[138:139], v[60:61], s[26:27], v[136:137] op_sel:[0,0,1] op_sel_hi:[1,0,0]
	v_pk_fma_f32 v[136:137], v[60:61], s[26:27], v[136:137] op_sel:[0,0,1] op_sel_hi:[1,0,0] neg_lo:[0,0,1] neg_hi:[0,0,1]
	v_mov_b32_e32 v140, v138
	v_mov_b32_e32 v141, v137
	v_pk_add_f32 v[126:127], v[140:141], v[126:127]
	v_pk_mul_f32 v[140:141], v[64:65], s[36:37] op_sel_hi:[1,0]
	v_pk_fma_f32 v[150:151], v[52:53], s[0:1], v[54:55] op_sel:[0,0,1] op_sel_hi:[1,0,0]
	v_pk_fma_f32 v[142:143], v[62:63], s[0:1], v[140:141] op_sel:[0,0,1] op_sel_hi:[1,0,0]
	v_pk_fma_f32 v[140:141], v[62:63], s[0:1], v[140:141] op_sel:[0,0,1] op_sel_hi:[1,0,0] neg_lo:[0,0,1] neg_hi:[0,0,1]
	v_mov_b32_e32 v144, v142
	v_mov_b32_e32 v145, v141
	v_pk_add_f32 v[126:127], v[144:145], v[126:127]
	v_pk_mul_f32 v[144:145], v[68:69], s[18:19] op_sel_hi:[1,0]
	v_pk_fma_f32 v[52:53], v[52:53], s[0:1], v[54:55] op_sel:[0,0,1] op_sel_hi:[1,0,0] neg_lo:[0,0,1] neg_hi:[0,0,1]
	v_pk_fma_f32 v[146:147], v[66:67], s[16:17], v[144:145] op_sel:[0,0,1] op_sel_hi:[1,0,0]
	v_pk_fma_f32 v[144:145], v[66:67], s[16:17], v[144:145] op_sel:[0,0,1] op_sel_hi:[1,0,0] neg_lo:[0,0,1] neg_hi:[0,0,1]
	v_mov_b32_e32 v148, v146
	v_mov_b32_e32 v149, v145
	v_pk_add_f32 v[126:127], v[148:149], v[126:127]
	v_pk_fma_f32 v[148:149], v[46:47], s[26:27], v[50:51] op_sel:[0,0,1] op_sel_hi:[1,0,0]
	v_pk_fma_f32 v[46:47], v[46:47], s[26:27], v[50:51] op_sel:[0,0,1] op_sel_hi:[1,0,0] neg_lo:[0,0,1] neg_hi:[0,0,1]
	v_mov_b32_e32 v50, v148
	v_mov_b32_e32 v51, v47
	v_pk_add_f32 v[50:51], v[0:1], v[50:51]
	v_mov_b32_e32 v54, v150
	v_mov_b32_e32 v55, v53
	v_pk_add_f32 v[50:51], v[54:55], v[50:51]
	v_pk_mul_f32 v[54:55], v[58:59], s[24:25] op_sel_hi:[1,0]
	v_pk_mul_f32 v[48:49], v[48:49], s[38:39] op_sel_hi:[1,0]
	v_pk_fma_f32 v[58:59], v[56:57], s[20:21], v[54:55] op_sel:[0,0,1] op_sel_hi:[1,0,0]
	v_pk_fma_f32 v[54:55], v[56:57], s[20:21], v[54:55] op_sel:[0,0,1] op_sel_hi:[1,0,0] neg_lo:[0,0,1] neg_hi:[0,0,1]
	v_mov_b32_e32 v56, v58
	v_mov_b32_e32 v57, v55
	;; [unrolled: 1-line block ×3, first 2 shown]
	v_pk_add_f32 v[50:51], v[56:57], v[50:51]
	v_pk_fma_f32 v[56:57], v[60:61], s[2:3], v[48:49] op_sel:[0,0,1] op_sel_hi:[1,0,0]
	v_pk_fma_f32 v[48:49], v[60:61], s[2:3], v[48:49] op_sel:[0,0,1] op_sel_hi:[1,0,0] neg_lo:[0,0,1] neg_hi:[0,0,1]
	v_pk_add_f32 v[46:47], v[0:1], v[46:47]
	v_mov_b32_e32 v53, v151
	v_mov_b32_e32 v60, v56
	;; [unrolled: 1-line block ×3, first 2 shown]
	v_pk_add_f32 v[46:47], v[52:53], v[46:47]
	v_mov_b32_e32 v55, v59
	v_pk_add_f32 v[50:51], v[60:61], v[50:51]
	v_pk_mul_f32 v[60:61], v[64:65], s[18:19] op_sel_hi:[1,0]
	v_pk_add_f32 v[46:47], v[54:55], v[46:47]
	v_mov_b32_e32 v49, v57
	v_mov_b32_e32 v79, v105
	v_pk_fma_f32 v[64:65], v[62:63], s[16:17], v[60:61] op_sel:[0,0,1] op_sel_hi:[1,0,0]
	v_pk_fma_f32 v[60:61], v[62:63], s[16:17], v[60:61] op_sel:[0,0,1] op_sel_hi:[1,0,0] neg_lo:[0,0,1] neg_hi:[0,0,1]
	v_pk_add_f32 v[46:47], v[48:49], v[46:47]
	v_pk_add_f32 v[48:49], v[0:1], v[78:79]
	v_mov_b32_e32 v129, v131
	v_mov_b32_e32 v62, v64
	;; [unrolled: 1-line block ×3, first 2 shown]
	v_pk_add_f32 v[48:49], v[128:129], v[48:49]
	v_mov_b32_e32 v133, v135
	v_pk_add_f32 v[50:51], v[62:63], v[50:51]
	v_pk_mul_f32 v[62:63], v[68:69], s[30:31] op_sel_hi:[1,0]
	v_pk_add_f32 v[48:49], v[132:133], v[48:49]
	v_mov_b32_e32 v137, v139
	v_pk_fma_f32 v[68:69], v[66:67], s[6:7], v[62:63] op_sel:[0,0,1] op_sel_hi:[1,0,0]
	v_pk_fma_f32 v[62:63], v[66:67], s[6:7], v[62:63] op_sel:[0,0,1] op_sel_hi:[1,0,0] neg_lo:[0,0,1] neg_hi:[0,0,1]
	v_mov_b32_e32 v61, v65
	v_pk_add_f32 v[48:49], v[136:137], v[48:49]
	v_mov_b32_e32 v141, v143
	v_mov_b32_e32 v67, v63
	v_pk_add_f32 v[46:47], v[60:61], v[46:47]
	v_mov_b32_e32 v63, v69
	v_pk_add_f32 v[48:49], v[140:141], v[48:49]
	;; [unrolled: 2-line block ×3, first 2 shown]
	v_pk_add_f32 v[48:49], v[144:145], v[48:49]
	v_add_u32_e32 v6, 0x1400, v165
	v_mov_b32_e32 v101, v103
	v_mov_b32_e32 v71, v73
	;; [unrolled: 1-line block ×4, first 2 shown]
	ds_write2_b64 v6, v[46:47], v[48:49] offset0:74 offset1:176
	v_pk_add_f32 v[46:47], v[0:1], v[100:101]
	v_mov_b32_e32 v107, v109
	v_pk_add_f32 v[48:49], v[0:1], v[70:71]
	v_mov_b32_e32 v81, v83
	;; [unrolled: 2-line block ×12, first 2 shown]
	v_mov_b32_e32 v66, v68
	v_pk_add_f32 v[46:47], v[114:115], v[46:47]
	v_mov_b32_e32 v119, v121
	v_pk_add_f32 v[48:49], v[88:89], v[48:49]
	;; [unrolled: 2-line block ×5, first 2 shown]
	v_add_u32_e32 v2, 0xc00, v165
	v_pk_add_f32 v[46:47], v[118:119], v[46:47]
	v_mov_b32_e32 v123, v125
	v_pk_add_f32 v[48:49], v[92:93], v[48:49]
	v_mov_b32_e32 v97, v99
	;; [unrolled: 2-line block ×4, first 2 shown]
	ds_write2_b64 v2, v[126:127], v[50:51] offset0:126 offset1:228
	v_pk_add_f32 v[46:47], v[122:123], v[46:47]
	v_pk_add_f32 v[48:49], v[96:97], v[48:49]
	v_add_u32_e32 v2, 0x1800, v165
	v_pk_add_f32 v[26:27], v[74:75], v[26:27]
	v_pk_add_f32 v[4:5], v[24:25], v[0:1]
	s_movk_i32 s6, 0x2000
	v_add_u32_e32 v0, 0x2000, v165
	ds_write2_b64 v2, v[46:47], v[48:49] offset0:150 offset1:252
	ds_write2_b64 v0, v[26:27], v[4:5] offset0:98 offset1:200
	s_waitcnt lgkmcnt(0)
	s_barrier
	s_and_b64 exec, exec, s[4:5]
	s_cbranch_execz .LBB0_23
; %bb.22:
	v_accvgpr_read_b32 v22, a0
	global_load_dwordx2 v[4:5], v22, s[12:13]
	ds_read_b64 v[14:15], v165
	v_accvgpr_read_b32 v24, a2
	v_mad_u64_u32 v[12:13], s[0:1], s10, v24, 0
	v_accvgpr_read_b32 v26, a4
	v_mov_b32_e32 v18, v13
	v_mad_u64_u32 v[16:17], s[4:5], s8, v26, 0
	v_mad_u64_u32 v[18:19], s[4:5], s11, v24, v[18:19]
	v_mov_b32_e32 v8, s14
	v_mov_b32_e32 v9, s15
	s_mov_b32 s0, 0x18b64019
	v_mov_b32_e32 v20, v17
	v_mov_b32_e32 v13, v18
	s_mov_b32 s1, 0x3f48b640
	v_mad_u64_u32 v[20:21], s[4:5], s9, v26, v[20:21]
	v_lshl_add_u64 v[8:9], v[12:13], 3, v[8:9]
	v_mov_b32_e32 v17, v20
	v_lshl_add_u64 v[8:9], v[16:17], 3, v[8:9]
	v_mov_b32_e32 v18, 0x270
	s_mul_i32 s2, s9, 0x270
	v_mov_b32_e32 v23, 0
	s_waitcnt vmcnt(0) lgkmcnt(0)
	v_mul_f32_e32 v1, v15, v5
	v_mul_f32_e32 v3, v14, v5
	v_fmac_f32_e32 v1, v14, v4
	v_fma_f32 v3, v4, v15, -v3
	v_cvt_f64_f32_e32 v[4:5], v1
	v_cvt_f64_f32_e32 v[12:13], v3
	v_mul_f64 v[4:5], v[4:5], s[0:1]
	v_mul_f64 v[12:13], v[12:13], s[0:1]
	v_cvt_f32_f64_e32 v4, v[4:5]
	v_cvt_f32_f64_e32 v5, v[12:13]
	global_store_dwordx2 v[8:9], v[4:5], off
	global_load_dwordx2 v[4:5], v22, s[12:13] offset:624
	ds_read2_b64 v[12:15], v165 offset0:78 offset1:156
	v_mad_u64_u32 v[8:9], s[4:5], s8, v18, v[8:9]
	v_add_u32_e32 v9, s2, v9
	s_waitcnt vmcnt(0) lgkmcnt(0)
	v_mul_f32_e32 v1, v13, v5
	v_mul_f32_e32 v3, v12, v5
	v_fmac_f32_e32 v1, v12, v4
	v_fma_f32 v3, v4, v13, -v3
	v_cvt_f64_f32_e32 v[4:5], v1
	v_cvt_f64_f32_e32 v[12:13], v3
	v_mul_f64 v[4:5], v[4:5], s[0:1]
	v_mul_f64 v[12:13], v[12:13], s[0:1]
	v_cvt_f32_f64_e32 v4, v[4:5]
	v_cvt_f32_f64_e32 v5, v[12:13]
	global_store_dwordx2 v[8:9], v[4:5], off
	global_load_dwordx2 v[4:5], v22, s[12:13] offset:1248
	v_mad_u64_u32 v[8:9], s[4:5], s8, v18, v[8:9]
	v_add_u32_e32 v9, s2, v9
	s_waitcnt vmcnt(0)
	v_mul_f32_e32 v1, v15, v5
	v_mul_f32_e32 v3, v14, v5
	v_fmac_f32_e32 v1, v14, v4
	v_fma_f32 v3, v4, v15, -v3
	v_cvt_f64_f32_e32 v[4:5], v1
	v_cvt_f64_f32_e32 v[12:13], v3
	v_mul_f64 v[4:5], v[4:5], s[0:1]
	v_mul_f64 v[12:13], v[12:13], s[0:1]
	v_cvt_f32_f64_e32 v4, v[4:5]
	v_cvt_f32_f64_e32 v5, v[12:13]
	global_store_dwordx2 v[8:9], v[4:5], off
	global_load_dwordx2 v[4:5], v22, s[12:13] offset:1872
	v_add_u32_e32 v1, 0x400, v165
	ds_read2_b64 v[12:15], v1 offset0:106 offset1:184
	v_mad_u64_u32 v[8:9], s[4:5], s8, v18, v[8:9]
	v_add_u32_e32 v9, s2, v9
	s_waitcnt vmcnt(0) lgkmcnt(0)
	v_mul_f32_e32 v1, v13, v5
	v_mul_f32_e32 v3, v12, v5
	v_fmac_f32_e32 v1, v12, v4
	v_fma_f32 v3, v4, v13, -v3
	v_cvt_f64_f32_e32 v[4:5], v1
	v_cvt_f64_f32_e32 v[12:13], v3
	v_mul_f64 v[4:5], v[4:5], s[0:1]
	v_mul_f64 v[12:13], v[12:13], s[0:1]
	v_cvt_f32_f64_e32 v4, v[4:5]
	v_cvt_f32_f64_e32 v5, v[12:13]
	global_store_dwordx2 v[8:9], v[4:5], off
	global_load_dwordx2 v[4:5], v22, s[12:13] offset:2496
	v_mad_u64_u32 v[12:13], s[4:5], s8, v18, v[8:9]
	v_add_u32_e32 v13, s2, v13
	s_waitcnt vmcnt(0)
	v_mul_f32_e32 v1, v15, v5
	v_mul_f32_e32 v3, v14, v5
	v_fmac_f32_e32 v1, v14, v4
	v_fma_f32 v3, v4, v15, -v3
	v_cvt_f64_f32_e32 v[4:5], v1
	v_cvt_f64_f32_e32 v[8:9], v3
	v_mul_f64 v[4:5], v[4:5], s[0:1]
	v_mul_f64 v[8:9], v[8:9], s[0:1]
	v_cvt_f32_f64_e32 v4, v[4:5]
	v_cvt_f32_f64_e32 v5, v[8:9]
	global_store_dwordx2 v[12:13], v[4:5], off
	global_load_dwordx2 v[4:5], v22, s[12:13] offset:3120
	ds_read2_b64 v[8:11], v10 offset0:134 offset1:212
	v_mad_u64_u32 v[12:13], s[4:5], s8, v18, v[12:13]
	v_add_u32_e32 v13, s2, v13
	v_lshl_add_u64 v[14:15], s[12:13], 0, v[22:23]
	v_add_co_u32_e32 v16, vcc, s3, v14
	s_waitcnt vmcnt(0) lgkmcnt(0)
	v_mul_f32_e32 v1, v9, v5
	v_mul_f32_e32 v3, v8, v5
	v_fmac_f32_e32 v1, v8, v4
	v_fma_f32 v3, v4, v9, -v3
	v_cvt_f64_f32_e32 v[4:5], v1
	v_cvt_f64_f32_e32 v[8:9], v3
	v_mul_f64 v[4:5], v[4:5], s[0:1]
	v_mul_f64 v[8:9], v[8:9], s[0:1]
	v_cvt_f32_f64_e32 v4, v[4:5]
	v_cvt_f32_f64_e32 v5, v[8:9]
	global_store_dwordx2 v[12:13], v[4:5], off
	global_load_dwordx2 v[4:5], v22, s[12:13] offset:3744
	v_mad_u64_u32 v[12:13], s[4:5], s8, v18, v[12:13]
	v_add_u32_e32 v13, s2, v13
	v_addc_co_u32_e32 v17, vcc, 0, v15, vcc
	s_waitcnt vmcnt(0)
	v_mul_f32_e32 v1, v11, v5
	v_mul_f32_e32 v3, v10, v5
	v_fmac_f32_e32 v1, v10, v4
	v_fma_f32 v3, v4, v11, -v3
	v_cvt_f64_f32_e32 v[4:5], v1
	v_cvt_f64_f32_e32 v[8:9], v3
	v_mul_f64 v[4:5], v[4:5], s[0:1]
	v_mul_f64 v[8:9], v[8:9], s[0:1]
	v_cvt_f32_f64_e32 v4, v[4:5]
	v_cvt_f32_f64_e32 v5, v[8:9]
	global_store_dwordx2 v[12:13], v[4:5], off
	global_load_dwordx2 v[4:5], v[16:17], off offset:272
	v_add_u32_e32 v1, 0x1000, v165
	ds_read2_b64 v[8:11], v1 offset0:34 offset1:112
	v_mad_u64_u32 v[12:13], s[4:5], s8, v18, v[12:13]
	v_add_u32_e32 v13, s2, v13
	s_waitcnt vmcnt(0) lgkmcnt(0)
	v_mul_f32_e32 v1, v9, v5
	v_mul_f32_e32 v3, v8, v5
	v_fmac_f32_e32 v1, v8, v4
	v_fma_f32 v3, v4, v9, -v3
	v_cvt_f64_f32_e32 v[4:5], v1
	v_cvt_f64_f32_e32 v[8:9], v3
	v_mul_f64 v[4:5], v[4:5], s[0:1]
	v_mul_f64 v[8:9], v[8:9], s[0:1]
	v_cvt_f32_f64_e32 v4, v[4:5]
	v_cvt_f32_f64_e32 v5, v[8:9]
	global_store_dwordx2 v[12:13], v[4:5], off
	global_load_dwordx2 v[4:5], v[16:17], off offset:896
	v_mad_u64_u32 v[8:9], s[4:5], s8, v18, v[12:13]
	v_add_u32_e32 v9, s2, v9
	s_waitcnt vmcnt(0)
	v_mul_f32_e32 v1, v11, v5
	v_mul_f32_e32 v3, v10, v5
	v_fmac_f32_e32 v1, v10, v4
	v_fma_f32 v3, v4, v11, -v3
	v_cvt_f64_f32_e32 v[4:5], v1
	v_cvt_f64_f32_e32 v[10:11], v3
	v_mul_f64 v[4:5], v[4:5], s[0:1]
	v_mul_f64 v[10:11], v[10:11], s[0:1]
	v_cvt_f32_f64_e32 v4, v[4:5]
	v_cvt_f32_f64_e32 v5, v[10:11]
	global_store_dwordx2 v[8:9], v[4:5], off
	global_load_dwordx2 v[10:11], v[16:17], off offset:1520
	ds_read2_b64 v[4:7], v6 offset0:62 offset1:140
	v_mad_u64_u32 v[8:9], s[4:5], s8, v18, v[8:9]
	v_add_u32_e32 v9, s2, v9
	s_waitcnt vmcnt(0) lgkmcnt(0)
	v_mul_f32_e32 v1, v5, v11
	v_mul_f32_e32 v3, v4, v11
	v_fmac_f32_e32 v1, v4, v10
	v_fma_f32 v3, v10, v5, -v3
	v_cvt_f64_f32_e32 v[4:5], v1
	v_cvt_f64_f32_e32 v[10:11], v3
	v_mul_f64 v[4:5], v[4:5], s[0:1]
	v_mul_f64 v[10:11], v[10:11], s[0:1]
	v_cvt_f32_f64_e32 v4, v[4:5]
	v_cvt_f32_f64_e32 v5, v[10:11]
	global_store_dwordx2 v[8:9], v[4:5], off
	global_load_dwordx2 v[4:5], v[16:17], off offset:2144
	v_mad_u64_u32 v[8:9], s[4:5], s8, v18, v[8:9]
	v_add_u32_e32 v9, s2, v9
	v_add_co_u32_e32 v10, vcc, s6, v14
	s_waitcnt vmcnt(0)
	v_mul_f32_e32 v1, v7, v5
	v_mul_f32_e32 v3, v6, v5
	v_fmac_f32_e32 v1, v6, v4
	v_fma_f32 v3, v4, v7, -v3
	v_cvt_f64_f32_e32 v[4:5], v1
	v_cvt_f64_f32_e32 v[6:7], v3
	v_mul_f64 v[4:5], v[4:5], s[0:1]
	v_mul_f64 v[6:7], v[6:7], s[0:1]
	v_cvt_f32_f64_e32 v4, v[4:5]
	v_cvt_f32_f64_e32 v5, v[6:7]
	global_store_dwordx2 v[8:9], v[4:5], off
	global_load_dwordx2 v[6:7], v[16:17], off offset:2768
	ds_read2_b64 v[2:5], v2 offset0:90 offset1:168
	v_mad_u64_u32 v[8:9], s[4:5], s8, v18, v[8:9]
	v_add_u32_e32 v9, s2, v9
	v_addc_co_u32_e32 v11, vcc, 0, v15, vcc
	s_waitcnt vmcnt(0) lgkmcnt(0)
	v_mul_f32_e32 v1, v3, v7
	v_mul_f32_e32 v7, v2, v7
	v_fmac_f32_e32 v1, v2, v6
	v_fma_f32 v6, v6, v3, -v7
	v_cvt_f64_f32_e32 v[2:3], v1
	v_cvt_f64_f32_e32 v[6:7], v6
	v_mul_f64 v[2:3], v[2:3], s[0:1]
	v_mul_f64 v[6:7], v[6:7], s[0:1]
	v_cvt_f32_f64_e32 v2, v[2:3]
	v_cvt_f32_f64_e32 v3, v[6:7]
	global_store_dwordx2 v[8:9], v[2:3], off
	global_load_dwordx2 v[2:3], v[16:17], off offset:3392
	v_mad_u64_u32 v[6:7], s[4:5], s8, v18, v[8:9]
	v_add_u32_e32 v7, s2, v7
	s_waitcnt vmcnt(0)
	v_mul_f32_e32 v1, v5, v3
	v_mul_f32_e32 v3, v4, v3
	v_fmac_f32_e32 v1, v4, v2
	v_fma_f32 v4, v2, v5, -v3
	v_cvt_f64_f32_e32 v[2:3], v1
	v_cvt_f64_f32_e32 v[4:5], v4
	v_mul_f64 v[2:3], v[2:3], s[0:1]
	v_mul_f64 v[4:5], v[4:5], s[0:1]
	v_cvt_f32_f64_e32 v2, v[2:3]
	v_cvt_f32_f64_e32 v3, v[4:5]
	global_store_dwordx2 v[6:7], v[2:3], off
	global_load_dwordx2 v[8:9], v[16:17], off offset:4016
	v_add_u32_e32 v1, 0x1c00, v165
	ds_read2_b64 v[2:5], v1 offset0:118 offset1:196
	v_mad_u64_u32 v[6:7], s[4:5], s8, v18, v[6:7]
	v_add_u32_e32 v7, s2, v7
	s_waitcnt vmcnt(0) lgkmcnt(0)
	v_mul_f32_e32 v1, v3, v9
	v_mul_f32_e32 v9, v2, v9
	v_fmac_f32_e32 v1, v2, v8
	v_fma_f32 v8, v8, v3, -v9
	v_cvt_f64_f32_e32 v[2:3], v1
	v_cvt_f64_f32_e32 v[8:9], v8
	v_mul_f64 v[2:3], v[2:3], s[0:1]
	v_mul_f64 v[8:9], v[8:9], s[0:1]
	v_cvt_f32_f64_e32 v2, v[2:3]
	v_cvt_f32_f64_e32 v3, v[8:9]
	global_store_dwordx2 v[6:7], v[2:3], off
	global_load_dwordx2 v[2:3], v[10:11], off offset:544
	v_mad_u64_u32 v[6:7], s[4:5], s8, v18, v[6:7]
	v_add_u32_e32 v7, s2, v7
	s_waitcnt vmcnt(0)
	v_mul_f32_e32 v1, v5, v3
	v_mul_f32_e32 v3, v4, v3
	v_fmac_f32_e32 v1, v4, v2
	v_fma_f32 v4, v2, v5, -v3
	v_cvt_f64_f32_e32 v[2:3], v1
	v_cvt_f64_f32_e32 v[4:5], v4
	v_mul_f64 v[2:3], v[2:3], s[0:1]
	v_mul_f64 v[4:5], v[4:5], s[0:1]
	v_cvt_f32_f64_e32 v2, v[2:3]
	v_cvt_f32_f64_e32 v3, v[4:5]
	global_store_dwordx2 v[6:7], v[2:3], off
	global_load_dwordx2 v[4:5], v[10:11], off offset:1168
	ds_read2_b64 v[0:3], v0 offset0:146 offset1:224
	v_mad_u64_u32 v[6:7], s[4:5], s8, v18, v[6:7]
	v_add_u32_e32 v7, s2, v7
	s_waitcnt vmcnt(0) lgkmcnt(0)
	v_mul_f32_e32 v8, v1, v5
	v_mul_f32_e32 v5, v0, v5
	v_fmac_f32_e32 v8, v0, v4
	v_fma_f32 v4, v4, v1, -v5
	v_cvt_f64_f32_e32 v[0:1], v8
	v_cvt_f64_f32_e32 v[4:5], v4
	v_mul_f64 v[0:1], v[0:1], s[0:1]
	v_mul_f64 v[4:5], v[4:5], s[0:1]
	v_cvt_f32_f64_e32 v0, v[0:1]
	v_cvt_f32_f64_e32 v1, v[4:5]
	global_store_dwordx2 v[6:7], v[0:1], off
	global_load_dwordx2 v[0:1], v[10:11], off offset:1792
	v_mad_u64_u32 v[4:5], s[4:5], s8, v18, v[6:7]
	v_add_u32_e32 v5, s2, v5
	s_waitcnt vmcnt(0)
	v_mul_f32_e32 v6, v3, v1
	v_mul_f32_e32 v1, v2, v1
	v_fmac_f32_e32 v6, v2, v0
	v_fma_f32 v2, v0, v3, -v1
	v_cvt_f64_f32_e32 v[0:1], v6
	v_cvt_f64_f32_e32 v[2:3], v2
	v_mul_f64 v[0:1], v[0:1], s[0:1]
	v_mul_f64 v[2:3], v[2:3], s[0:1]
	v_cvt_f32_f64_e32 v0, v[0:1]
	v_cvt_f32_f64_e32 v1, v[2:3]
	global_store_dwordx2 v[4:5], v[0:1], off
.LBB0_23:
	s_endpgm
	.section	.rodata,"a",@progbits
	.p2align	6, 0x0
	.amdhsa_kernel bluestein_single_back_len1326_dim1_sp_op_CI_CI
		.amdhsa_group_segment_fixed_size 21216
		.amdhsa_private_segment_fixed_size 0
		.amdhsa_kernarg_size 104
		.amdhsa_user_sgpr_count 2
		.amdhsa_user_sgpr_dispatch_ptr 0
		.amdhsa_user_sgpr_queue_ptr 0
		.amdhsa_user_sgpr_kernarg_segment_ptr 1
		.amdhsa_user_sgpr_dispatch_id 0
		.amdhsa_user_sgpr_kernarg_preload_length 0
		.amdhsa_user_sgpr_kernarg_preload_offset 0
		.amdhsa_user_sgpr_private_segment_size 0
		.amdhsa_uses_dynamic_stack 0
		.amdhsa_enable_private_segment 0
		.amdhsa_system_sgpr_workgroup_id_x 1
		.amdhsa_system_sgpr_workgroup_id_y 0
		.amdhsa_system_sgpr_workgroup_id_z 0
		.amdhsa_system_sgpr_workgroup_info 0
		.amdhsa_system_vgpr_workitem_id 0
		.amdhsa_next_free_vgpr 318
		.amdhsa_next_free_sgpr 74
		.amdhsa_accum_offset 256
		.amdhsa_reserve_vcc 1
		.amdhsa_float_round_mode_32 0
		.amdhsa_float_round_mode_16_64 0
		.amdhsa_float_denorm_mode_32 3
		.amdhsa_float_denorm_mode_16_64 3
		.amdhsa_dx10_clamp 1
		.amdhsa_ieee_mode 1
		.amdhsa_fp16_overflow 0
		.amdhsa_tg_split 0
		.amdhsa_exception_fp_ieee_invalid_op 0
		.amdhsa_exception_fp_denorm_src 0
		.amdhsa_exception_fp_ieee_div_zero 0
		.amdhsa_exception_fp_ieee_overflow 0
		.amdhsa_exception_fp_ieee_underflow 0
		.amdhsa_exception_fp_ieee_inexact 0
		.amdhsa_exception_int_div_zero 0
	.end_amdhsa_kernel
	.text
.Lfunc_end0:
	.size	bluestein_single_back_len1326_dim1_sp_op_CI_CI, .Lfunc_end0-bluestein_single_back_len1326_dim1_sp_op_CI_CI
                                        ; -- End function
	.section	.AMDGPU.csdata,"",@progbits
; Kernel info:
; codeLenInByte = 23632
; NumSgprs: 80
; NumVgprs: 256
; NumAgprs: 62
; TotalNumVgprs: 318
; ScratchSize: 0
; MemoryBound: 0
; FloatMode: 240
; IeeeMode: 1
; LDSByteSize: 21216 bytes/workgroup (compile time only)
; SGPRBlocks: 9
; VGPRBlocks: 39
; NumSGPRsForWavesPerEU: 80
; NumVGPRsForWavesPerEU: 318
; AccumOffset: 256
; Occupancy: 1
; WaveLimiterHint : 1
; COMPUTE_PGM_RSRC2:SCRATCH_EN: 0
; COMPUTE_PGM_RSRC2:USER_SGPR: 2
; COMPUTE_PGM_RSRC2:TRAP_HANDLER: 0
; COMPUTE_PGM_RSRC2:TGID_X_EN: 1
; COMPUTE_PGM_RSRC2:TGID_Y_EN: 0
; COMPUTE_PGM_RSRC2:TGID_Z_EN: 0
; COMPUTE_PGM_RSRC2:TIDIG_COMP_CNT: 0
; COMPUTE_PGM_RSRC3_GFX90A:ACCUM_OFFSET: 63
; COMPUTE_PGM_RSRC3_GFX90A:TG_SPLIT: 0
	.text
	.p2alignl 6, 3212836864
	.fill 256, 4, 3212836864
	.type	__hip_cuid_f71c133aa45cc0ac,@object ; @__hip_cuid_f71c133aa45cc0ac
	.section	.bss,"aw",@nobits
	.globl	__hip_cuid_f71c133aa45cc0ac
__hip_cuid_f71c133aa45cc0ac:
	.byte	0                               ; 0x0
	.size	__hip_cuid_f71c133aa45cc0ac, 1

	.ident	"AMD clang version 19.0.0git (https://github.com/RadeonOpenCompute/llvm-project roc-6.4.0 25133 c7fe45cf4b819c5991fe208aaa96edf142730f1d)"
	.section	".note.GNU-stack","",@progbits
	.addrsig
	.addrsig_sym __hip_cuid_f71c133aa45cc0ac
	.amdgpu_metadata
---
amdhsa.kernels:
  - .agpr_count:     62
    .args:
      - .actual_access:  read_only
        .address_space:  global
        .offset:         0
        .size:           8
        .value_kind:     global_buffer
      - .actual_access:  read_only
        .address_space:  global
        .offset:         8
        .size:           8
        .value_kind:     global_buffer
      - .actual_access:  read_only
        .address_space:  global
        .offset:         16
        .size:           8
        .value_kind:     global_buffer
      - .actual_access:  read_only
        .address_space:  global
        .offset:         24
        .size:           8
        .value_kind:     global_buffer
      - .actual_access:  read_only
        .address_space:  global
        .offset:         32
        .size:           8
        .value_kind:     global_buffer
      - .offset:         40
        .size:           8
        .value_kind:     by_value
      - .address_space:  global
        .offset:         48
        .size:           8
        .value_kind:     global_buffer
      - .address_space:  global
        .offset:         56
        .size:           8
        .value_kind:     global_buffer
      - .address_space:  global
        .offset:         64
        .size:           8
        .value_kind:     global_buffer
      - .address_space:  global
        .offset:         72
        .size:           8
        .value_kind:     global_buffer
      - .offset:         80
        .size:           4
        .value_kind:     by_value
      - .address_space:  global
        .offset:         88
        .size:           8
        .value_kind:     global_buffer
      - .address_space:  global
        .offset:         96
        .size:           8
        .value_kind:     global_buffer
    .group_segment_fixed_size: 21216
    .kernarg_segment_align: 8
    .kernarg_segment_size: 104
    .language:       OpenCL C
    .language_version:
      - 2
      - 0
    .max_flat_workgroup_size: 204
    .name:           bluestein_single_back_len1326_dim1_sp_op_CI_CI
    .private_segment_fixed_size: 0
    .sgpr_count:     80
    .sgpr_spill_count: 0
    .symbol:         bluestein_single_back_len1326_dim1_sp_op_CI_CI.kd
    .uniform_work_group_size: 1
    .uses_dynamic_stack: false
    .vgpr_count:     318
    .vgpr_spill_count: 0
    .wavefront_size: 64
amdhsa.target:   amdgcn-amd-amdhsa--gfx950
amdhsa.version:
  - 1
  - 2
...

	.end_amdgpu_metadata
